;; amdgpu-corpus repo=ROCm/rocFFT kind=compiled arch=gfx906 opt=O3
	.text
	.amdgcn_target "amdgcn-amd-amdhsa--gfx906"
	.amdhsa_code_object_version 6
	.protected	bluestein_single_back_len1960_dim1_half_op_CI_CI ; -- Begin function bluestein_single_back_len1960_dim1_half_op_CI_CI
	.globl	bluestein_single_back_len1960_dim1_half_op_CI_CI
	.p2align	8
	.type	bluestein_single_back_len1960_dim1_half_op_CI_CI,@function
bluestein_single_back_len1960_dim1_half_op_CI_CI: ; @bluestein_single_back_len1960_dim1_half_op_CI_CI
; %bb.0:
	s_load_dwordx4 s[8:11], s[4:5], 0x28
	v_mul_u32_u24_e32 v1, 0x493, v0
	v_mov_b32_e32 v49, 0
	v_add_u32_sdwa v52, s6, v1 dst_sel:DWORD dst_unused:UNUSED_PAD src0_sel:DWORD src1_sel:WORD_1
	v_mov_b32_e32 v53, v49
	s_waitcnt lgkmcnt(0)
	v_cmp_gt_u64_e32 vcc, s[8:9], v[52:53]
	s_and_saveexec_b64 s[0:1], vcc
	s_cbranch_execz .LBB0_25
; %bb.1:
	s_load_dwordx4 s[0:3], s[4:5], 0x18
	v_mov_b32_e32 v2, 56
	v_mul_lo_u16_sdwa v1, v1, v2 dst_sel:DWORD dst_unused:UNUSED_PAD src0_sel:WORD_1 src1_sel:DWORD
	v_sub_u16_e32 v126, v0, v1
	v_lshlrev_b32_e32 v95, 2, v126
	s_waitcnt lgkmcnt(0)
	s_load_dwordx4 s[12:15], s[0:1], 0x0
	v_or_b32_e32 v48, 0x1c0, v126
	s_waitcnt lgkmcnt(0)
	v_mad_u64_u32 v[0:1], s[0:1], s14, v52, 0
	v_mad_u64_u32 v[2:3], s[0:1], s12, v126, 0
	s_mul_hi_u32 s6, s12, 0xffffe9e8
	s_sub_i32 s6, s6, s12
	v_mad_u64_u32 v[4:5], s[0:1], s15, v52, v[1:2]
	s_load_dwordx2 s[14:15], s[4:5], 0x0
	v_mad_u64_u32 v[5:6], s[0:1], s13, v126, v[3:4]
	v_mov_b32_e32 v1, v4
	v_lshlrev_b64 v[0:1], 2, v[0:1]
	v_mov_b32_e32 v6, s11
	v_mov_b32_e32 v3, v5
	v_add_co_u32_e32 v4, vcc, s10, v0
	v_addc_co_u32_e32 v5, vcc, v6, v1, vcc
	v_lshlrev_b64 v[0:1], 2, v[2:3]
	s_mul_i32 s0, s13, 0x1ea
	v_add_co_u32_e32 v0, vcc, v4, v0
	s_mul_hi_u32 s1, s12, 0x1ea
	v_addc_co_u32_e32 v1, vcc, v5, v1, vcc
	s_add_i32 s1, s1, s0
	s_mul_i32 s0, s12, 0x1ea
	global_load_dword v2, v[0:1], off
	s_lshl_b64 s[16:17], s[0:1], 2
	s_waitcnt lgkmcnt(0)
	global_load_dword v128, v95, s[14:15]
	v_mov_b32_e32 v3, s17
	v_add_co_u32_e32 v0, vcc, s16, v0
	v_addc_co_u32_e32 v1, vcc, v1, v3, vcc
	global_load_dword v8, v[0:1], off
	global_load_dword v127, v95, s[14:15] offset:1960
	v_add_co_u32_e32 v0, vcc, s16, v0
	v_addc_co_u32_e32 v1, vcc, v1, v3, vcc
	v_add_co_u32_e32 v6, vcc, s16, v0
	global_load_dword v10, v[0:1], off
	global_load_dword v125, v95, s[14:15] offset:3920
	v_addc_co_u32_e32 v7, vcc, v1, v3, vcc
	v_mov_b32_e32 v9, s15
	v_add_co_u32_e32 v50, vcc, s14, v95
	v_addc_co_u32_e32 v51, vcc, 0, v9, vcc
	s_movk_i32 s0, 0x1000
	v_add_co_u32_e32 v0, vcc, s0, v50
	global_load_dword v11, v[6:7], off
	v_addc_co_u32_e32 v1, vcc, 0, v51, vcc
	global_load_dword v123, v[0:1], off offset:1784
	s_mul_i32 s1, s13, 0xffffe9e8
	s_mul_i32 s0, s12, 0xffffe9e8
	s_add_i32 s1, s6, s1
	v_mov_b32_e32 v9, s1
	v_add_co_u32_e32 v6, vcc, s0, v6
	v_addc_co_u32_e32 v7, vcc, v7, v9, vcc
	global_load_dword v9, v[6:7], off
	global_load_dword v121, v95, s[14:15] offset:224
	v_add_co_u32_e32 v6, vcc, s16, v6
	v_addc_co_u32_e32 v7, vcc, v7, v3, vcc
	s_load_dwordx2 s[6:7], s[4:5], 0x38
	s_load_dwordx4 s[8:11], s[2:3], 0x0
	global_load_dword v120, v95, s[14:15] offset:2184
	global_load_dword v116, v95, s[14:15] offset:448
	;; [unrolled: 1-line block ×7, first 2 shown]
	global_load_dword v124, v[0:1], off offset:48
	global_load_dword v12, v[6:7], off
	v_add_co_u32_e32 v6, vcc, s16, v6
	v_addc_co_u32_e32 v7, vcc, v7, v3, vcc
	global_load_dword v13, v[6:7], off
	global_load_dword v119, v95, s[14:15] offset:2408
	global_load_dword v115, v95, s[14:15] offset:2632
	;; [unrolled: 1-line block ×6, first 2 shown]
	v_add_co_u32_e32 v6, vcc, s16, v6
	v_addc_co_u32_e32 v7, vcc, v7, v3, vcc
	s_waitcnt vmcnt(25)
	v_lshrrev_b32_e32 v14, 16, v2
	s_waitcnt vmcnt(24)
	v_mul_f16_sdwa v15, v128, v2 dst_sel:DWORD dst_unused:UNUSED_PAD src0_sel:WORD_1 src1_sel:DWORD
	v_mul_f16_sdwa v16, v128, v14 dst_sel:DWORD dst_unused:UNUSED_PAD src0_sel:WORD_1 src1_sel:DWORD
	v_fma_f16 v14, v128, v14, -v15
	v_fma_f16 v2, v128, v2, v16
	v_pack_b32_f16 v2, v2, v14
	s_waitcnt vmcnt(23)
	v_lshrrev_b32_e32 v15, 16, v8
	s_waitcnt vmcnt(22)
	v_mul_f16_sdwa v14, v127, v15 dst_sel:DWORD dst_unused:UNUSED_PAD src0_sel:WORD_1 src1_sel:DWORD
	v_fma_f16 v14, v127, v8, v14
	v_mul_f16_sdwa v8, v127, v8 dst_sel:DWORD dst_unused:UNUSED_PAD src0_sel:WORD_1 src1_sel:DWORD
	v_fma_f16 v8, v127, v15, -v8
	v_pack_b32_f16 v8, v14, v8
	ds_write_b32 v95, v8 offset:1960
	s_waitcnt vmcnt(21)
	v_lshrrev_b32_e32 v8, 16, v10
	s_waitcnt vmcnt(20)
	v_mul_f16_sdwa v15, v125, v8 dst_sel:DWORD dst_unused:UNUSED_PAD src0_sel:WORD_1 src1_sel:DWORD
	v_fma_f16 v15, v125, v10, v15
	v_mul_f16_sdwa v10, v125, v10 dst_sel:DWORD dst_unused:UNUSED_PAD src0_sel:WORD_1 src1_sel:DWORD
	v_fma_f16 v8, v125, v8, -v10
	v_pack_b32_f16 v8, v15, v8
	ds_write_b32 v95, v8 offset:3920
	global_load_dword v14, v[6:7], off
	global_load_dword v118, v[0:1], off offset:272
	global_load_dword v114, v[0:1], off offset:496
	global_load_dword v109, v[0:1], off offset:720
	global_load_dword v105, v[0:1], off offset:944
	global_load_dword v101, v[0:1], off offset:1168
	global_load_dword v97, v[0:1], off offset:1392
	global_load_dword v122, v[0:1], off offset:2008
	v_add_co_u32_e32 v6, vcc, s0, v6
	s_waitcnt vmcnt(27)
	v_lshrrev_b32_e32 v8, 16, v11
	s_waitcnt vmcnt(26)
	v_mul_f16_sdwa v10, v123, v8 dst_sel:DWORD dst_unused:UNUSED_PAD src0_sel:WORD_1 src1_sel:DWORD
	v_fma_f16 v10, v123, v11, v10
	v_mul_f16_sdwa v11, v123, v11 dst_sel:DWORD dst_unused:UNUSED_PAD src0_sel:WORD_1 src1_sel:DWORD
	v_fma_f16 v8, v123, v8, -v11
	v_pack_b32_f16 v8, v10, v8
	v_mov_b32_e32 v10, s1
	v_addc_co_u32_e32 v7, vcc, v7, v10, vcc
	global_load_dword v10, v[6:7], off
	v_add_co_u32_e32 v6, vcc, s16, v6
	v_addc_co_u32_e32 v7, vcc, v7, v3, vcc
	global_load_dword v11, v[6:7], off
	v_add_co_u32_e32 v6, vcc, s16, v6
	v_addc_co_u32_e32 v7, vcc, v7, v3, vcc
	global_load_dword v16, v[6:7], off
	ds_write_b32 v95, v8 offset:5880
	s_waitcnt vmcnt(28)
	v_lshrrev_b32_e32 v8, 16, v9
	s_waitcnt vmcnt(27)
	v_mul_f16_sdwa v15, v121, v8 dst_sel:DWORD dst_unused:UNUSED_PAD src0_sel:WORD_1 src1_sel:DWORD
	v_fma_f16 v15, v121, v9, v15
	v_mul_f16_sdwa v9, v121, v9 dst_sel:DWORD dst_unused:UNUSED_PAD src0_sel:WORD_1 src1_sel:DWORD
	v_add_co_u32_e32 v6, vcc, s16, v6
	v_fma_f16 v8, v121, v8, -v9
	v_addc_co_u32_e32 v7, vcc, v7, v3, vcc
	v_pack_b32_f16 v8, v15, v8
	global_load_dword v15, v[6:7], off
	global_load_dword v117, v[0:1], off offset:2232
	ds_write2_b32 v95, v2, v8 offset1:56
	s_waitcnt vmcnt(20)
	v_lshrrev_b32_e32 v2, 16, v12
	v_mul_f16_sdwa v9, v120, v12 dst_sel:DWORD dst_unused:UNUSED_PAD src0_sel:WORD_1 src1_sel:DWORD
	v_mul_f16_sdwa v8, v120, v2 dst_sel:DWORD dst_unused:UNUSED_PAD src0_sel:WORD_1 src1_sel:DWORD
	v_fma_f16 v2, v120, v2, -v9
	v_mov_b32_e32 v9, s1
	v_add_co_u32_e32 v6, vcc, s0, v6
	v_addc_co_u32_e32 v7, vcc, v7, v9, vcc
	v_fma_f16 v8, v120, v12, v8
	global_load_dword v12, v[6:7], off
	v_add_co_u32_e32 v6, vcc, s16, v6
	v_addc_co_u32_e32 v7, vcc, v7, v3, vcc
	global_load_dword v17, v[6:7], off
	v_add_co_u32_e32 v6, vcc, s16, v6
	v_addc_co_u32_e32 v7, vcc, v7, v3, vcc
	;; [unrolled: 3-line block ×3, first 2 shown]
	v_pack_b32_f16 v2, v8, v2
	s_waitcnt vmcnt(22)
	v_lshrrev_b32_e32 v8, 16, v13
	global_load_dword v20, v[6:7], off
	global_load_dword v112, v[0:1], off offset:2456
	v_mul_f16_sdwa v9, v124, v8 dst_sel:DWORD dst_unused:UNUSED_PAD src0_sel:WORD_1 src1_sel:DWORD
	v_fma_f16 v9, v124, v13, v9
	v_mul_f16_sdwa v13, v124, v13 dst_sel:DWORD dst_unused:UNUSED_PAD src0_sel:WORD_1 src1_sel:DWORD
	v_fma_f16 v8, v124, v8, -v13
	v_pack_b32_f16 v13, v9, v8
	v_mov_b32_e32 v8, s1
	v_add_co_u32_e32 v6, vcc, s0, v6
	v_addc_co_u32_e32 v7, vcc, v7, v8, vcc
	global_load_dword v21, v[6:7], off
	global_load_dword v108, v[0:1], off offset:2680
	global_load_dword v104, v[0:1], off offset:2904
	;; [unrolled: 1-line block ×4, first 2 shown]
	s_waitcnt vmcnt(22)
	v_lshrrev_b32_e32 v19, 16, v14
	s_waitcnt vmcnt(15)
	v_mul_f16_sdwa v8, v122, v19 dst_sel:DWORD dst_unused:UNUSED_PAD src0_sel:WORD_1 src1_sel:DWORD
	v_fma_f16 v22, v122, v14, v8
	v_mul_f16_sdwa v14, v122, v14 dst_sel:DWORD dst_unused:UNUSED_PAD src0_sel:WORD_1 src1_sel:DWORD
	v_add_co_u32_e32 v8, vcc, s16, v6
	v_fma_f16 v6, v122, v19, -v14
	v_pack_b32_f16 v14, v22, v6
	v_addc_co_u32_e32 v9, vcc, v7, v3, vcc
	global_load_dword v23, v[8:9], off
	s_waitcnt vmcnt(15)
	v_lshrrev_b32_e32 v6, 16, v10
	v_mul_f16_sdwa v7, v116, v6 dst_sel:DWORD dst_unused:UNUSED_PAD src0_sel:WORD_1 src1_sel:DWORD
	v_fma_f16 v7, v116, v10, v7
	v_mul_f16_sdwa v10, v116, v10 dst_sel:DWORD dst_unused:UNUSED_PAD src0_sel:WORD_1 src1_sel:DWORD
	v_fma_f16 v6, v116, v6, -v10
	v_pack_b32_f16 v10, v7, v6
	s_waitcnt vmcnt(14)
	v_lshrrev_b32_e32 v6, 16, v11
	v_mul_f16_sdwa v7, v119, v6 dst_sel:DWORD dst_unused:UNUSED_PAD src0_sel:WORD_1 src1_sel:DWORD
	v_fma_f16 v7, v119, v11, v7
	v_mul_f16_sdwa v11, v119, v11 dst_sel:DWORD dst_unused:UNUSED_PAD src0_sel:WORD_1 src1_sel:DWORD
	v_fma_f16 v6, v119, v6, -v11
	v_pack_b32_f16 v7, v7, v6
	v_add_u32_e32 v6, 0x800, v95
	ds_write2_b32 v6, v2, v7 offset0:34 offset1:90
	s_waitcnt vmcnt(13)
	v_lshrrev_b32_e32 v2, 16, v16
	v_mul_f16_sdwa v7, v118, v2 dst_sel:DWORD dst_unused:UNUSED_PAD src0_sel:WORD_1 src1_sel:DWORD
	v_mul_f16_sdwa v11, v118, v16 dst_sel:DWORD dst_unused:UNUSED_PAD src0_sel:WORD_1 src1_sel:DWORD
	v_fma_f16 v7, v118, v16, v7
	v_fma_f16 v2, v118, v2, -v11
	v_pack_b32_f16 v2, v7, v2
	v_add_u32_e32 v16, 0x1000, v95
	ds_write2_b32 v16, v13, v2 offset0:12 offset1:68
	s_waitcnt vmcnt(12)
	v_lshrrev_b32_e32 v2, 16, v15
	s_waitcnt vmcnt(11)
	v_mul_f16_sdwa v7, v117, v2 dst_sel:DWORD dst_unused:UNUSED_PAD src0_sel:WORD_1 src1_sel:DWORD
	v_fma_f16 v11, v117, v15, v7
	v_add_co_u32_e32 v7, vcc, s16, v8
	v_addc_co_u32_e32 v8, vcc, v9, v3, vcc
	global_load_dword v9, v[7:8], off
	v_mul_f16_sdwa v13, v117, v15 dst_sel:DWORD dst_unused:UNUSED_PAD src0_sel:WORD_1 src1_sel:DWORD
	v_fma_f16 v2, v117, v2, -v13
	v_pack_b32_f16 v2, v11, v2
	v_add_u32_e32 v11, 0x1600, v95
	ds_write2_b32 v11, v14, v2 offset0:118 offset1:174
	s_waitcnt vmcnt(11)
	v_lshrrev_b32_e32 v2, 16, v12
	v_mul_f16_sdwa v11, v113, v2 dst_sel:DWORD dst_unused:UNUSED_PAD src0_sel:WORD_1 src1_sel:DWORD
	v_fma_f16 v11, v113, v12, v11
	v_mul_f16_sdwa v12, v113, v12 dst_sel:DWORD dst_unused:UNUSED_PAD src0_sel:WORD_1 src1_sel:DWORD
	v_fma_f16 v2, v113, v2, -v12
	v_pack_b32_f16 v2, v11, v2
	v_add_co_u32_e32 v7, vcc, s16, v7
	ds_write2_b32 v95, v10, v2 offset0:112 offset1:168
	s_waitcnt vmcnt(10)
	v_lshrrev_b32_e32 v2, 16, v17
	v_mul_f16_sdwa v11, v115, v17 dst_sel:DWORD dst_unused:UNUSED_PAD src0_sel:WORD_1 src1_sel:DWORD
	v_addc_co_u32_e32 v8, vcc, v8, v3, vcc
	v_mul_f16_sdwa v10, v115, v2 dst_sel:DWORD dst_unused:UNUSED_PAD src0_sel:WORD_1 src1_sel:DWORD
	v_fma_f16 v2, v115, v2, -v11
	global_load_dword v11, v[7:8], off
	v_fma_f16 v10, v115, v17, v10
	v_pack_b32_f16 v2, v10, v2
	s_waitcnt vmcnt(10)
	v_lshrrev_b32_e32 v10, 16, v18
	v_mul_f16_sdwa v12, v114, v10 dst_sel:DWORD dst_unused:UNUSED_PAD src0_sel:WORD_1 src1_sel:DWORD
	v_mul_f16_sdwa v13, v114, v18 dst_sel:DWORD dst_unused:UNUSED_PAD src0_sel:WORD_1 src1_sel:DWORD
	v_fma_f16 v12, v114, v18, v12
	v_fma_f16 v10, v114, v10, -v13
	v_pack_b32_f16 v10, v12, v10
	s_waitcnt vmcnt(9)
	v_lshrrev_b32_e32 v12, 16, v20
	s_waitcnt vmcnt(8)
	v_mul_f16_sdwa v13, v112, v12 dst_sel:DWORD dst_unused:UNUSED_PAD src0_sel:WORD_1 src1_sel:DWORD
	v_mul_f16_sdwa v14, v112, v20 dst_sel:DWORD dst_unused:UNUSED_PAD src0_sel:WORD_1 src1_sel:DWORD
	v_fma_f16 v13, v112, v20, v13
	v_fma_f16 v12, v112, v12, -v14
	v_pack_b32_f16 v12, v13, v12
	s_waitcnt vmcnt(7)
	v_lshrrev_b32_e32 v13, 16, v21
	v_mul_f16_sdwa v14, v110, v13 dst_sel:DWORD dst_unused:UNUSED_PAD src0_sel:WORD_1 src1_sel:DWORD
	v_mul_f16_sdwa v15, v110, v21 dst_sel:DWORD dst_unused:UNUSED_PAD src0_sel:WORD_1 src1_sel:DWORD
	v_fma_f16 v14, v110, v21, v14
	v_fma_f16 v13, v110, v13, -v15
	v_pack_b32_f16 v13, v14, v13
	v_mov_b32_e32 v14, s1
	v_add_co_u32_e32 v7, vcc, s0, v7
	v_addc_co_u32_e32 v8, vcc, v8, v14, vcc
	global_load_dword v14, v[7:8], off
	v_add_co_u32_e32 v7, vcc, s16, v7
	v_addc_co_u32_e32 v8, vcc, v8, v3, vcc
	global_load_dword v18, v[7:8], off
	;; [unrolled: 3-line block ×3, first 2 shown]
	v_add_co_u32_e32 v7, vcc, s16, v7
	s_waitcnt vmcnt(5)
	v_lshrrev_b32_e32 v15, 16, v23
	v_mul_f16_sdwa v19, v111, v23 dst_sel:DWORD dst_unused:UNUSED_PAD src0_sel:WORD_1 src1_sel:DWORD
	v_addc_co_u32_e32 v8, vcc, v8, v3, vcc
	v_mul_f16_sdwa v17, v111, v15 dst_sel:DWORD dst_unused:UNUSED_PAD src0_sel:WORD_1 src1_sel:DWORD
	v_fma_f16 v15, v111, v15, -v19
	global_load_dword v19, v[7:8], off
	v_mov_b32_e32 v21, s1
	v_add_co_u32_e32 v7, vcc, s0, v7
	v_addc_co_u32_e32 v8, vcc, v8, v21, vcc
	global_load_dword v21, v[7:8], off
	v_add_co_u32_e32 v7, vcc, s16, v7
	v_addc_co_u32_e32 v8, vcc, v8, v3, vcc
	global_load_dword v22, v[7:8], off
	v_add_co_u32_e32 v7, vcc, s16, v7
	v_fma_f16 v17, v111, v23, v17
	v_addc_co_u32_e32 v8, vcc, v8, v3, vcc
	v_pack_b32_f16 v15, v17, v15
	global_load_dword v23, v[7:8], off
	ds_write2_b32 v6, v2, v15 offset0:146 offset1:202
	s_waitcnt vmcnt(8)
	v_lshrrev_b32_e32 v2, 16, v9
	v_mul_f16_sdwa v15, v109, v2 dst_sel:DWORD dst_unused:UNUSED_PAD src0_sel:WORD_1 src1_sel:DWORD
	v_add_co_u32_e32 v7, vcc, s16, v7
	v_fma_f16 v15, v109, v9, v15
	v_mul_f16_sdwa v9, v109, v9 dst_sel:DWORD dst_unused:UNUSED_PAD src0_sel:WORD_1 src1_sel:DWORD
	v_addc_co_u32_e32 v8, vcc, v8, v3, vcc
	v_fma_f16 v2, v109, v2, -v9
	global_load_dword v9, v[7:8], off
	v_pack_b32_f16 v2, v15, v2
	ds_write2_b32 v16, v10, v2 offset0:124 offset1:180
	v_mov_b32_e32 v2, s1
	v_add_co_u32_e32 v7, vcc, s0, v7
	v_addc_co_u32_e32 v8, vcc, v8, v2, vcc
	global_load_dword v10, v[7:8], off
	v_add_co_u32_e32 v7, vcc, s16, v7
	v_addc_co_u32_e32 v8, vcc, v8, v3, vcc
	global_load_dword v24, v[7:8], off
	s_waitcnt vmcnt(10)
	v_lshrrev_b32_e32 v2, 16, v11
	v_mul_f16_sdwa v15, v108, v2 dst_sel:DWORD dst_unused:UNUSED_PAD src0_sel:WORD_1 src1_sel:DWORD
	v_add_co_u32_e32 v7, vcc, s16, v7
	v_fma_f16 v15, v108, v11, v15
	v_mul_f16_sdwa v11, v108, v11 dst_sel:DWORD dst_unused:UNUSED_PAD src0_sel:WORD_1 src1_sel:DWORD
	v_addc_co_u32_e32 v8, vcc, v8, v3, vcc
	v_fma_f16 v2, v108, v2, -v11
	global_load_dword v11, v[7:8], off
	v_pack_b32_f16 v15, v15, v2
	v_add_co_u32_e32 v2, vcc, s16, v7
	v_addc_co_u32_e32 v3, vcc, v8, v3, vcc
	global_load_dword v8, v[2:3], off
	v_add_u32_e32 v17, 0x1800, v95
	ds_write2_b32 v17, v12, v15 offset0:102 offset1:158
	s_waitcnt vmcnt(11)
	v_lshrrev_b32_e32 v7, 16, v14
	v_mul_f16_sdwa v12, v106, v7 dst_sel:DWORD dst_unused:UNUSED_PAD src0_sel:WORD_1 src1_sel:DWORD
	v_fma_f16 v12, v106, v14, v12
	v_mul_f16_sdwa v14, v106, v14 dst_sel:DWORD dst_unused:UNUSED_PAD src0_sel:WORD_1 src1_sel:DWORD
	v_fma_f16 v7, v106, v7, -v14
	v_pack_b32_f16 v12, v12, v7
	v_add_u32_e32 v7, 0x200, v95
	ds_write2_b32 v7, v13, v12 offset0:96 offset1:152
	s_waitcnt vmcnt(10)
	v_lshrrev_b32_e32 v12, 16, v18
	v_mul_f16_sdwa v13, v107, v12 dst_sel:DWORD dst_unused:UNUSED_PAD src0_sel:WORD_1 src1_sel:DWORD
	v_mul_f16_sdwa v14, v107, v18 dst_sel:DWORD dst_unused:UNUSED_PAD src0_sel:WORD_1 src1_sel:DWORD
	v_fma_f16 v13, v107, v18, v13
	v_fma_f16 v12, v107, v12, -v14
	v_pack_b32_f16 v12, v13, v12
	s_waitcnt vmcnt(9)
	v_lshrrev_b32_e32 v13, 16, v20
	v_mul_f16_sdwa v14, v105, v13 dst_sel:DWORD dst_unused:UNUSED_PAD src0_sel:WORD_1 src1_sel:DWORD
	v_mul_f16_sdwa v15, v105, v20 dst_sel:DWORD dst_unused:UNUSED_PAD src0_sel:WORD_1 src1_sel:DWORD
	v_fma_f16 v14, v105, v20, v14
	v_fma_f16 v13, v105, v13, -v15
	v_pack_b32_f16 v13, v14, v13
	;; [unrolled: 7-line block ×5, first 2 shown]
	v_add_u32_e32 v18, 0xc00, v95
	ds_write2_b32 v18, v12, v19 offset0:2 offset1:58
	s_waitcnt vmcnt(5)
	v_lshrrev_b32_e32 v12, 16, v23
	v_mul_f16_sdwa v19, v101, v12 dst_sel:DWORD dst_unused:UNUSED_PAD src0_sel:WORD_1 src1_sel:DWORD
	v_mul_f16_sdwa v20, v101, v23 dst_sel:DWORD dst_unused:UNUSED_PAD src0_sel:WORD_1 src1_sel:DWORD
	v_fma_f16 v19, v101, v23, v19
	v_fma_f16 v12, v101, v12, -v20
	v_pack_b32_f16 v12, v19, v12
	v_add_u32_e32 v19, 0x1200, v95
	ds_write2_b32 v19, v13, v12 offset0:108 offset1:164
	s_waitcnt vmcnt(4)
	v_lshrrev_b32_e32 v12, 16, v9
	v_mul_f16_sdwa v13, v100, v12 dst_sel:DWORD dst_unused:UNUSED_PAD src0_sel:WORD_1 src1_sel:DWORD
	v_fma_f16 v13, v100, v9, v13
	v_mul_f16_sdwa v9, v100, v9 dst_sel:DWORD dst_unused:UNUSED_PAD src0_sel:WORD_1 src1_sel:DWORD
	v_fma_f16 v9, v100, v12, -v9
	v_pack_b32_f16 v9, v13, v9
	v_add_u32_e32 v12, 0x1a00, v95
	ds_write2_b32 v12, v14, v9 offset0:86 offset1:142
	s_waitcnt vmcnt(3)
	v_lshrrev_b32_e32 v9, 16, v10
	v_mul_f16_sdwa v12, v99, v9 dst_sel:DWORD dst_unused:UNUSED_PAD src0_sel:WORD_1 src1_sel:DWORD
	v_fma_f16 v12, v99, v10, v12
	v_mul_f16_sdwa v10, v99, v10 dst_sel:DWORD dst_unused:UNUSED_PAD src0_sel:WORD_1 src1_sel:DWORD
	v_fma_f16 v9, v99, v9, -v10
	v_pack_b32_f16 v9, v12, v9
	v_add_u32_e32 v19, 0x400, v95
	ds_write2_b32 v19, v15, v9 offset0:80 offset1:136
	s_waitcnt vmcnt(2)
	v_lshrrev_b32_e32 v9, 16, v24
	v_mul_f16_sdwa v10, v98, v9 dst_sel:DWORD dst_unused:UNUSED_PAD src0_sel:WORD_1 src1_sel:DWORD
	v_mul_f16_sdwa v12, v98, v24 dst_sel:DWORD dst_unused:UNUSED_PAD src0_sel:WORD_1 src1_sel:DWORD
	v_fma_f16 v10, v98, v24, v10
	v_fma_f16 v9, v98, v9, -v12
	v_pack_b32_f16 v9, v10, v9
	ds_write_b32 v95, v9 offset:3528
	s_waitcnt vmcnt(1)
	v_lshrrev_b32_e32 v9, 16, v11
	v_mul_f16_sdwa v10, v97, v9 dst_sel:DWORD dst_unused:UNUSED_PAD src0_sel:WORD_1 src1_sel:DWORD
	v_fma_f16 v10, v97, v11, v10
	v_mul_f16_sdwa v11, v97, v11 dst_sel:DWORD dst_unused:UNUSED_PAD src0_sel:WORD_1 src1_sel:DWORD
	v_fma_f16 v9, v97, v9, -v11
	v_pack_b32_f16 v9, v10, v9
	ds_write_b32 v95, v9 offset:5488
	s_waitcnt vmcnt(0)
	v_lshrrev_b32_e32 v9, 16, v8
	v_mul_f16_sdwa v10, v96, v9 dst_sel:DWORD dst_unused:UNUSED_PAD src0_sel:WORD_1 src1_sel:DWORD
	s_mov_b64 s[0:1], 0x1e9
	v_fma_f16 v10, v96, v8, v10
	v_mul_f16_sdwa v8, v96, v8 dst_sel:DWORD dst_unused:UNUSED_PAD src0_sel:WORD_1 src1_sel:DWORD
	v_cmp_lt_u64_e64 s[2:3], s[0:1], v[48:49]
	s_mov_b64 s[0:1], 0x1ea
	v_fma_f16 v8, v96, v9, -v8
	v_cmp_gt_u64_e64 s[0:1], s[0:1], v[48:49]
	v_pack_b32_f16 v8, v10, v8
	ds_write_b32 v95, v8 offset:7448
	s_and_saveexec_b64 s[18:19], s[0:1]
	s_cbranch_execz .LBB0_3
; %bb.2:
	v_mad_u64_u32 v[8:9], s[20:21], s12, v48, 0
	v_mov_b32_e32 v10, 0xfffff190
	v_mad_u64_u32 v[2:3], s[20:21], s12, v10, v[2:3]
	v_mad_u64_u32 v[9:10], s[20:21], s13, v48, v[9:10]
	s_mulk_i32 s13, 0xf190
	s_sub_i32 s12, s13, s12
	v_add_u32_e32 v3, s12, v3
	global_load_dword v10, v[2:3], off
	global_load_dword v11, v[50:51], off offset:3752
	v_mov_b32_e32 v12, s17
	v_add_co_u32_e32 v2, vcc, s16, v2
	v_addc_co_u32_e32 v3, vcc, v3, v12, vcc
	global_load_dword v13, v[2:3], off
	global_load_dword v14, v[0:1], off offset:1616
	v_add_co_u32_e32 v2, vcc, s16, v2
	v_addc_co_u32_e32 v3, vcc, v3, v12, vcc
	global_load_dword v12, v[2:3], off
	global_load_dword v15, v[0:1], off offset:3576
	v_lshlrev_b64 v[0:1], 2, v[8:9]
	v_add_co_u32_e32 v0, vcc, v4, v0
	v_addc_co_u32_e32 v1, vcc, v5, v1, vcc
	global_load_dword v2, v[0:1], off
	global_load_dword v3, v[50:51], off offset:1792
	s_waitcnt vmcnt(7)
	v_lshrrev_b32_e32 v0, 16, v10
	s_waitcnt vmcnt(6)
	v_mul_f16_sdwa v1, v11, v10 dst_sel:DWORD dst_unused:UNUSED_PAD src0_sel:WORD_1 src1_sel:DWORD
	v_mul_f16_sdwa v4, v11, v0 dst_sel:DWORD dst_unused:UNUSED_PAD src0_sel:WORD_1 src1_sel:DWORD
	v_fma_f16 v0, v11, v0, -v1
	v_fma_f16 v4, v11, v10, v4
	v_pack_b32_f16 v0, v4, v0
	s_waitcnt vmcnt(5)
	v_lshrrev_b32_e32 v1, 16, v13
	s_waitcnt vmcnt(4)
	v_mul_f16_sdwa v5, v14, v13 dst_sel:DWORD dst_unused:UNUSED_PAD src0_sel:WORD_1 src1_sel:DWORD
	v_mul_f16_sdwa v8, v14, v1 dst_sel:DWORD dst_unused:UNUSED_PAD src0_sel:WORD_1 src1_sel:DWORD
	v_fma_f16 v1, v14, v1, -v5
	v_fma_f16 v4, v14, v13, v8
	s_waitcnt vmcnt(3)
	v_lshrrev_b32_e32 v5, 16, v12
	s_waitcnt vmcnt(2)
	v_mul_f16_sdwa v9, v15, v12 dst_sel:DWORD dst_unused:UNUSED_PAD src0_sel:WORD_1 src1_sel:DWORD
	v_mul_f16_sdwa v8, v15, v5 dst_sel:DWORD dst_unused:UNUSED_PAD src0_sel:WORD_1 src1_sel:DWORD
	v_fma_f16 v5, v15, v5, -v9
	ds_write_b32 v95, v0 offset:3752
	v_pack_b32_f16 v0, v4, v1
	v_fma_f16 v1, v15, v12, v8
	ds_write_b32 v95, v0 offset:5712
	v_pack_b32_f16 v0, v1, v5
	s_waitcnt vmcnt(1)
	v_lshrrev_b32_e32 v1, 16, v2
	s_waitcnt vmcnt(0)
	v_mul_f16_sdwa v4, v3, v2 dst_sel:DWORD dst_unused:UNUSED_PAD src0_sel:WORD_1 src1_sel:DWORD
	v_mul_f16_sdwa v5, v3, v1 dst_sel:DWORD dst_unused:UNUSED_PAD src0_sel:WORD_1 src1_sel:DWORD
	v_fma_f16 v1, v3, v1, -v4
	v_fma_f16 v2, v3, v2, v5
	v_pack_b32_f16 v1, v2, v1
	ds_write_b32 v95, v1 offset:1792
	ds_write_b32 v95, v0 offset:7672
.LBB0_3:
	s_or_b64 exec, exec, s[18:19]
	v_add_u32_e32 v0, 0x600, v95
	s_waitcnt lgkmcnt(0)
	; wave barrier
	s_waitcnt lgkmcnt(0)
	ds_read2_b32 v[14:15], v0 offset0:106 offset1:162
	v_add_u32_e32 v0, 0xe00, v95
	ds_read2_b32 v[28:29], v0 offset0:84 offset1:140
	v_add_u32_e32 v32, 0x1400, v95
	v_add_u32_e32 v0, 0xa00, v95
	ds_read2_b32 v[12:13], v95 offset1:56
	ds_read2_b32 v[30:31], v32 offset0:190 offset1:246
	ds_read2_b32 v[8:9], v95 offset0:112 offset1:168
	;; [unrolled: 1-line block ×12, first 2 shown]
	v_add_u32_e32 v18, 0x1c00, v95
	ds_read2_b32 v[18:19], v18 offset0:14 offset1:70
                                        ; implicit-def: $vgpr32
                                        ; implicit-def: $vgpr34
                                        ; implicit-def: $vgpr33
                                        ; implicit-def: $vgpr35
	s_and_saveexec_b64 s[12:13], s[0:1]
	s_cbranch_execz .LBB0_5
; %bb.4:
	ds_read_b32 v32, v95 offset:1792
	ds_read_b32 v33, v95 offset:3752
	;; [unrolled: 1-line block ×4, first 2 shown]
.LBB0_5:
	s_or_b64 exec, exec, s[12:13]
	s_waitcnt lgkmcnt(13)
	v_pk_add_f16 v28, v12, v28 neg_lo:[0,1] neg_hi:[0,1]
	s_waitcnt lgkmcnt(12)
	v_pk_add_f16 v30, v14, v30 neg_lo:[0,1] neg_hi:[0,1]
	;; [unrolled: 2-line block ×3, first 2 shown]
	v_pk_add_f16 v29, v13, v29 neg_lo:[0,1] neg_hi:[0,1]
	s_waitcnt lgkmcnt(4)
	v_pk_add_f16 v66, v6, v22 neg_lo:[0,1] neg_hi:[0,1]
	v_lshrrev_b32_e32 v20, 16, v65
	v_pk_fma_f16 v12, v12, 2.0, v28 op_sel_hi:[1,0,1] neg_lo:[0,0,1] neg_hi:[0,0,1]
	v_pk_fma_f16 v14, v14, 2.0, v30 op_sel_hi:[1,0,1] neg_lo:[0,0,1] neg_hi:[0,0,1]
	v_lshrrev_b32_e32 v37, 16, v28
	v_pk_add_f16 v31, v15, v31 neg_lo:[0,1] neg_hi:[0,1]
	v_lshrrev_b32_e32 v44, 16, v29
	v_add_f16_e32 v68, v20, v66
	v_pk_add_f16 v71, v5, v21 neg_lo:[0,1] neg_hi:[0,1]
	v_pk_add_f16 v21, v12, v14 neg_lo:[0,1] neg_hi:[0,1]
	v_sub_f16_sdwa v36, v28, v30 dst_sel:DWORD dst_unused:UNUSED_PAD src0_sel:DWORD src1_sel:WORD_1
	v_add_f16_e32 v38, v37, v30
	v_sub_f16_sdwa v43, v29, v31 dst_sel:DWORD dst_unused:UNUSED_PAD src0_sel:DWORD src1_sel:WORD_1
	v_add_f16_e32 v45, v44, v31
	v_pk_add_f16 v24, v8, v24 neg_lo:[0,1] neg_hi:[0,1]
	v_fma_f16 v70, v20, 2.0, -v68
	v_pk_add_f16 v23, v7, v23 neg_lo:[0,1] neg_hi:[0,1]
	v_lshrrev_b32_e32 v20, 16, v71
	s_waitcnt lgkmcnt(0)
	v_pk_add_f16 v83, v3, v19 neg_lo:[0,1] neg_hi:[0,1]
	v_pk_fma_f16 v19, v12, 2.0, v21 op_sel_hi:[1,0,1] neg_lo:[0,0,1] neg_hi:[0,0,1]
	v_pk_fma_f16 v12, v13, 2.0, v29 op_sel_hi:[1,0,1] neg_lo:[0,0,1] neg_hi:[0,0,1]
	v_pk_fma_f16 v13, v15, 2.0, v31 op_sel_hi:[1,0,1] neg_lo:[0,0,1] neg_hi:[0,0,1]
	v_add_co_u32_e32 v58, vcc, 56, v126
	v_fma_f16 v39, v28, 2.0, -v36
	v_fma_f16 v37, v37, 2.0, -v38
	;; [unrolled: 1-line block ×4, first 2 shown]
	v_pk_add_f16 v26, v10, v26 neg_lo:[0,1] neg_hi:[0,1]
	v_lshrrev_b32_e32 v46, 16, v24
	v_add_f16_e32 v73, v20, v23
	v_pk_add_f16 v14, v12, v13 neg_lo:[0,1] neg_hi:[0,1]
	v_add_f16_e32 v54, v46, v26
	v_pk_add_f16 v25, v9, v25 neg_lo:[0,1] neg_hi:[0,1]
	v_fma_f16 v75, v20, 2.0, -v73
	v_lshlrev_b32_e32 v49, 4, v126
	v_pack_b32_f16 v22, v36, v38
	v_pack_b32_f16 v20, v39, v37
	v_lshlrev_b32_e32 v129, 4, v58
	v_pk_fma_f16 v12, v12, 2.0, v14 op_sel_hi:[1,0,1] neg_lo:[0,0,1] neg_hi:[0,0,1]
	v_pack_b32_f16 v15, v43, v45
	v_pack_b32_f16 v13, v47, v44
	v_pk_fma_f16 v8, v8, 2.0, v24 op_sel_hi:[1,0,1] neg_lo:[0,0,1] neg_hi:[0,0,1]
	v_pk_fma_f16 v10, v10, 2.0, v26 op_sel_hi:[1,0,1] neg_lo:[0,0,1] neg_hi:[0,0,1]
	v_fma_f16 v60, v46, 2.0, -v54
	v_pk_add_f16 v27, v11, v27 neg_lo:[0,1] neg_hi:[0,1]
	v_lshrrev_b32_e32 v46, 16, v25
	s_waitcnt lgkmcnt(0)
	; wave barrier
	ds_write_b128 v49, v[19:22]
	ds_write_b128 v129, v[12:15]
	v_pk_add_f16 v14, v8, v10 neg_lo:[0,1] neg_hi:[0,1]
	s_movk_i32 s12, 0xa8
	v_sub_f16_sdwa v53, v24, v26 dst_sel:DWORD dst_unused:UNUSED_PAD src0_sel:DWORD src1_sel:WORD_1
	v_sub_f16_sdwa v61, v25, v27 dst_sel:DWORD dst_unused:UNUSED_PAD src0_sel:DWORD src1_sel:WORD_1
	v_add_f16_e32 v62, v46, v27
	v_pk_fma_f16 v12, v8, 2.0, v14 op_sel_hi:[1,0,1] neg_lo:[0,0,1] neg_hi:[0,0,1]
	v_pk_fma_f16 v8, v9, 2.0, v25 op_sel_hi:[1,0,1] neg_lo:[0,0,1] neg_hi:[0,0,1]
	;; [unrolled: 1-line block ×3, first 2 shown]
	v_add_co_u32_e32 v41, vcc, 0x70, v126
	v_add_co_u32_e32 v42, vcc, s12, v126
	v_fma_f16 v59, v24, 2.0, -v53
	v_fma_f16 v63, v25, 2.0, -v61
	;; [unrolled: 1-line block ×3, first 2 shown]
	v_pk_add_f16 v10, v8, v9 neg_lo:[0,1] neg_hi:[0,1]
	v_lshlrev_b32_e32 v130, 4, v41
	v_pack_b32_f16 v15, v53, v54
	v_pack_b32_f16 v13, v59, v60
	v_lshlrev_b32_e32 v131, 4, v42
	v_pk_fma_f16 v8, v8, 2.0, v10 op_sel_hi:[1,0,1] neg_lo:[0,0,1] neg_hi:[0,0,1]
	v_pack_b32_f16 v11, v61, v62
	v_pack_b32_f16 v9, v63, v64
	v_pk_fma_f16 v4, v4, 2.0, v65 op_sel_hi:[1,0,1] neg_lo:[0,0,1] neg_hi:[0,0,1]
	v_pk_fma_f16 v6, v6, 2.0, v66 op_sel_hi:[1,0,1] neg_lo:[0,0,1] neg_hi:[0,0,1]
	s_movk_i32 s12, 0xe0
	v_pk_add_f16 v76, v0, v16 neg_lo:[0,1] neg_hi:[0,1]
	ds_write_b128 v130, v[12:15]
	ds_write_b128 v131, v[8:11]
	v_pk_add_f16 v10, v4, v6 neg_lo:[0,1] neg_hi:[0,1]
	v_add_co_u32_e32 v40, vcc, s12, v126
	s_movk_i32 s12, 0x118
	v_sub_f16_sdwa v67, v65, v66 dst_sel:DWORD dst_unused:UNUSED_PAD src0_sel:DWORD src1_sel:WORD_1
	v_sub_f16_sdwa v72, v71, v23 dst_sel:DWORD dst_unused:UNUSED_PAD src0_sel:DWORD src1_sel:WORD_1
	v_pk_add_f16 v77, v2, v18 neg_lo:[0,1] neg_hi:[0,1]
	v_lshrrev_b32_e32 v16, 16, v76
	v_pk_fma_f16 v8, v4, 2.0, v10 op_sel_hi:[1,0,1] neg_lo:[0,0,1] neg_hi:[0,0,1]
	v_pk_fma_f16 v4, v5, 2.0, v71 op_sel_hi:[1,0,1] neg_lo:[0,0,1] neg_hi:[0,0,1]
	;; [unrolled: 1-line block ×3, first 2 shown]
	v_add_co_u32_e32 v57, vcc, s12, v126
	v_fma_f16 v69, v65, 2.0, -v67
	v_fma_f16 v74, v71, 2.0, -v72
	v_add_f16_e32 v79, v16, v77
	v_pk_add_f16 v82, v1, v17 neg_lo:[0,1] neg_hi:[0,1]
	v_pk_add_f16 v6, v4, v5 neg_lo:[0,1] neg_hi:[0,1]
	s_load_dwordx2 s[4:5], s[4:5], 0x8
	v_fma_f16 v81, v16, 2.0, -v79
	v_lshrrev_b32_e32 v16, 16, v82
	v_lshlrev_b32_e32 v132, 4, v40
	v_pack_b32_f16 v11, v67, v68
	v_pack_b32_f16 v9, v69, v70
	v_lshlrev_b32_e32 v133, 4, v57
	v_pk_fma_f16 v4, v4, 2.0, v6 op_sel_hi:[1,0,1] neg_lo:[0,0,1] neg_hi:[0,0,1]
	v_pack_b32_f16 v7, v72, v73
	v_pack_b32_f16 v5, v74, v75
	v_pk_fma_f16 v0, v0, 2.0, v76 op_sel_hi:[1,0,1] neg_lo:[0,0,1] neg_hi:[0,0,1]
	v_pk_fma_f16 v2, v2, 2.0, v77 op_sel_hi:[1,0,1] neg_lo:[0,0,1] neg_hi:[0,0,1]
	s_movk_i32 s12, 0x150
	v_add_f16_e32 v85, v16, v83
	ds_write_b128 v132, v[8:11]
	ds_write_b128 v133, v[4:7]
	v_pk_add_f16 v6, v0, v2 neg_lo:[0,1] neg_hi:[0,1]
	v_add_co_u32_e32 v56, vcc, s12, v126
	s_movk_i32 s12, 0x188
	v_sub_f16_sdwa v78, v76, v77 dst_sel:DWORD dst_unused:UNUSED_PAD src0_sel:DWORD src1_sel:WORD_1
	v_sub_f16_sdwa v84, v82, v83 dst_sel:DWORD dst_unused:UNUSED_PAD src0_sel:DWORD src1_sel:WORD_1
	v_fma_f16 v87, v16, 2.0, -v85
	v_pk_add_f16 v16, v32, v34 neg_lo:[0,1] neg_hi:[0,1]
	v_pk_add_f16 v18, v33, v35 neg_lo:[0,1] neg_hi:[0,1]
	v_pk_fma_f16 v4, v0, 2.0, v6 op_sel_hi:[1,0,1] neg_lo:[0,0,1] neg_hi:[0,0,1]
	v_pk_fma_f16 v0, v1, 2.0, v82 op_sel_hi:[1,0,1] neg_lo:[0,0,1] neg_hi:[0,0,1]
	;; [unrolled: 1-line block ×3, first 2 shown]
	v_add_co_u32_e32 v55, vcc, s12, v126
	v_fma_f16 v80, v76, 2.0, -v78
	v_fma_f16 v86, v82, 2.0, -v84
	v_pk_add_f16 v17, v16, v18 op_sel:[0,1] op_sel_hi:[1,0]
	v_pk_add_f16 v2, v0, v1 neg_lo:[0,1] neg_hi:[0,1]
	v_pk_add_f16 v46, v16, v18 op_sel:[0,1] op_sel_hi:[1,0] neg_lo:[0,1] neg_hi:[0,1]
	v_lshlrev_b32_e32 v134, 4, v56
	v_pack_b32_f16 v7, v78, v79
	v_pack_b32_f16 v5, v80, v81
	v_lshlrev_b32_e32 v135, 4, v55
	v_pk_fma_f16 v0, v0, 2.0, v2 op_sel_hi:[1,0,1] neg_lo:[0,0,1] neg_hi:[0,0,1]
	v_pack_b32_f16 v3, v84, v85
	v_pack_b32_f16 v1, v86, v87
	v_lshrrev_b32_e32 v47, 16, v17
	ds_write_b128 v134, v[4:7]
	ds_write_b128 v135, v[0:3]
	s_and_saveexec_b64 s[12:13], s[2:3]
	s_xor_b64 s[2:3], exec, s[12:13]
; %bb.6:
                                        ; implicit-def: $vgpr32
                                        ; implicit-def: $vgpr16
                                        ; implicit-def: $vgpr33
                                        ; implicit-def: $vgpr18
                                        ; implicit-def: $vgpr17
; %bb.7:
	s_or_saveexec_b64 s[2:3], s[2:3]
	v_lshlrev_b32_e32 v136, 4, v48
	s_xor_b64 exec, exec, s[2:3]
	s_cbranch_execz .LBB0_9
; %bb.8:
	v_pk_fma_f16 v0, v32, 2.0, v16 op_sel_hi:[1,0,1] neg_lo:[0,0,1] neg_hi:[0,0,1]
	v_pk_fma_f16 v1, v33, 2.0, v18 op_sel_hi:[1,0,1] neg_lo:[0,0,1] neg_hi:[0,0,1]
	s_mov_b32 s12, 0xffff
	v_pk_add_f16 v2, v0, v1 neg_lo:[0,1] neg_hi:[0,1]
	v_bfi_b32 v3, s12, v46, v17
	v_pk_fma_f16 v0, v0, 2.0, v2 op_sel_hi:[1,0,1] neg_lo:[0,0,1] neg_hi:[0,0,1]
	v_pk_fma_f16 v1, v16, 2.0, v3 op_sel_hi:[1,0,1] neg_lo:[0,0,1] neg_hi:[0,0,1]
	ds_write_b128 v136, v[0:3]
.LBB0_9:
	s_or_b64 exec, exec, s[2:3]
	v_and_b32_e32 v11, 3, v126
	v_mul_u32_u24_e32 v0, 6, v11
	v_lshlrev_b32_e32 v4, 2, v0
	s_waitcnt lgkmcnt(0)
	; wave barrier
	s_waitcnt lgkmcnt(0)
	global_load_dwordx4 v[0:3], v4, s[4:5]
	global_load_dwordx2 v[53:54], v4, s[4:5] offset:16
	ds_read2_b32 v[14:15], v95 offset1:56
	v_add_u32_e32 v10, 0x200, v95
	v_add_u32_e32 v7, 0x800, v95
	;; [unrolled: 1-line block ×7, first 2 shown]
	ds_read2_b32 v[16:17], v95 offset0:112 offset1:168
	v_add_u32_e32 v13, 0x1200, v95
	v_add_u32_e32 v23, 0x1c00, v95
	v_add_u32_e32 v45, 0xe00, v95
	ds_read_b32 v67, v95 offset:7616
	ds_read2_b32 v[4:5], v10 offset0:96 offset1:152
	ds_read2_b32 v[18:19], v7 offset0:48 offset1:104
	;; [unrolled: 1-line block ×11, first 2 shown]
	ds_read2_b32 v[59:60], v23 offset1:56
	ds_read2_b32 v[61:62], v8 offset0:192 offset1:248
	ds_read2_b32 v[63:64], v45 offset0:112 offset1:168
	;; [unrolled: 1-line block ×3, first 2 shown]
	s_waitcnt lgkmcnt(14)
	v_lshrrev_b32_e32 v68, 16, v5
	s_waitcnt lgkmcnt(10)
	v_lshrrev_b32_e32 v72, 16, v27
	;; [unrolled: 2-line block ×4, first 2 shown]
	v_lshrrev_b32_e32 v75, 16, v19
	s_waitcnt lgkmcnt(7)
	v_lshrrev_b32_e32 v76, 16, v32
	v_lshrrev_b32_e32 v77, 16, v25
	s_waitcnt lgkmcnt(6)
	v_lshrrev_b32_e32 v78, 16, v34
	v_lshrrev_b32_e32 v79, 16, v29
	;; [unrolled: 1-line block ×3, first 2 shown]
	s_waitcnt lgkmcnt(5)
	v_lshrrev_b32_e32 v81, 16, v36
	v_lshrrev_b32_e32 v82, 16, v33
	s_waitcnt lgkmcnt(4)
	v_lshrrev_b32_e32 v83, 16, v43
	v_lshrrev_b32_e32 v84, 16, v35
	s_waitcnt lgkmcnt(3)
	v_lshrrev_b32_e32 v85, 16, v59
	s_waitcnt lgkmcnt(2)
	v_lshrrev_b32_e32 v86, 16, v61
	v_lshrrev_b32_e32 v87, 16, v37
	s_waitcnt lgkmcnt(1)
	v_lshrrev_b32_e32 v88, 16, v63
	;; [unrolled: 3-line block ×3, first 2 shown]
	v_lshrrev_b32_e32 v91, 16, v60
	v_lshrrev_b32_e32 v92, 16, v62
	;; [unrolled: 1-line block ×10, first 2 shown]
	s_movk_i32 s3, 0x2b26
	s_movk_i32 s2, 0x3b00
	s_mov_b32 s12, 0xbcab
	s_movk_i32 s13, 0x39e0
	s_mov_b32 s17, 0xb9e0
	;; [unrolled: 2-line block ×3, first 2 shown]
	s_movk_i32 s16, 0x370e
	s_waitcnt lgkmcnt(0)
	; wave barrier
	v_lshlrev_b32_e32 v38, 2, v126
	v_lshlrev_b32_e32 v39, 2, v58
	v_cmp_gt_u16_e32 vcc, 28, v126
	s_waitcnt vmcnt(1)
	v_mul_f16_sdwa v139, v68, v0 dst_sel:DWORD dst_unused:UNUSED_PAD src0_sel:DWORD src1_sel:WORD_1
	s_waitcnt vmcnt(0)
	v_mul_f16_sdwa v147, v72, v53 dst_sel:DWORD dst_unused:UNUSED_PAD src0_sel:DWORD src1_sel:WORD_1
	v_mul_f16_sdwa v140, v5, v0 dst_sel:DWORD dst_unused:UNUSED_PAD src0_sel:DWORD src1_sel:WORD_1
	v_fma_f16 v5, v5, v0, -v139
	v_fma_f16 v139, v27, v53, -v147
	v_mul_f16_sdwa v27, v27, v53 dst_sel:DWORD dst_unused:UNUSED_PAD src0_sel:DWORD src1_sel:WORD_1
	v_fma_f16 v27, v72, v53, v27
	v_mul_f16_sdwa v72, v73, v54 dst_sel:DWORD dst_unused:UNUSED_PAD src0_sel:DWORD src1_sel:WORD_1
	v_fma_f16 v72, v28, v54, -v72
	v_mul_f16_sdwa v28, v28, v54 dst_sel:DWORD dst_unused:UNUSED_PAD src0_sel:DWORD src1_sel:WORD_1
	v_fma_f16 v28, v73, v54, v28
	v_mul_f16_sdwa v73, v74, v0 dst_sel:DWORD dst_unused:UNUSED_PAD src0_sel:DWORD src1_sel:WORD_1
	;; [unrolled: 4-line block ×24, first 2 shown]
	v_fma_f16 v137, v66, v53, -v137
	v_mul_f16_sdwa v66, v66, v53 dst_sel:DWORD dst_unused:UNUSED_PAD src0_sel:DWORD src1_sel:WORD_1
	v_mul_f16_sdwa v141, v69, v1 dst_sel:DWORD dst_unused:UNUSED_PAD src0_sel:DWORD src1_sel:WORD_1
	;; [unrolled: 1-line block ×3, first 2 shown]
	v_fma_f16 v66, v138, v53, v66
	v_mul_f16_sdwa v138, v45, v54 dst_sel:DWORD dst_unused:UNUSED_PAD src0_sel:DWORD src1_sel:WORD_1
	v_mul_f16_sdwa v143, v70, v2 dst_sel:DWORD dst_unused:UNUSED_PAD src0_sel:DWORD src1_sel:WORD_1
	;; [unrolled: 1-line block ×5, first 2 shown]
	v_fma_f16 v68, v68, v0, v140
	v_fma_f16 v18, v18, v1, -v141
	v_fma_f16 v69, v69, v1, v142
	v_fma_f16 v138, v67, v54, -v138
	v_mul_f16_sdwa v67, v67, v54 dst_sel:DWORD dst_unused:UNUSED_PAD src0_sel:DWORD src1_sel:WORD_1
	v_fma_f16 v21, v21, v2, -v143
	v_fma_f16 v70, v70, v2, v144
	v_fma_f16 v24, v24, v3, -v145
	v_fma_f16 v71, v71, v3, v146
	v_fma_f16 v45, v45, v54, v67
	v_add_f16_e32 v67, v5, v72
	v_add_f16_e32 v140, v68, v28
	v_sub_f16_e32 v5, v5, v72
	v_sub_f16_e32 v28, v68, v28
	v_add_f16_e32 v68, v18, v139
	v_add_f16_e32 v72, v69, v27
	v_sub_f16_e32 v18, v18, v139
	v_sub_f16_e32 v27, v69, v27
	;; [unrolled: 4-line block ×4, first 2 shown]
	v_sub_f16_e32 v67, v67, v69
	v_sub_f16_e32 v140, v140, v139
	;; [unrolled: 1-line block ×4, first 2 shown]
	v_add_f16_e32 v143, v21, v18
	v_add_f16_e32 v144, v24, v27
	v_sub_f16_e32 v145, v21, v18
	v_sub_f16_e32 v146, v24, v27
	;; [unrolled: 1-line block ×4, first 2 shown]
	v_add_f16_e32 v69, v69, v70
	v_add_f16_e32 v70, v139, v71
	v_sub_f16_e32 v21, v5, v21
	v_sub_f16_e32 v24, v28, v24
	v_add_f16_e32 v5, v143, v5
	v_add_f16_e32 v28, v144, v28
	;; [unrolled: 1-line block ×3, first 2 shown]
	v_add_f16_sdwa v14, v14, v70 dst_sel:DWORD dst_unused:UNUSED_PAD src0_sel:WORD_1 src1_sel:DWORD
	v_mul_f16_e32 v67, 0x3a52, v67
	v_mul_f16_e32 v139, 0x3a52, v140
	;; [unrolled: 1-line block ×8, first 2 shown]
	v_fma_f16 v69, v69, s12, v71
	v_fma_f16 v70, v70, s12, v14
	;; [unrolled: 1-line block ×4, first 2 shown]
	v_fma_f16 v140, v141, s13, -v140
	v_fma_f16 v143, v142, s13, -v143
	v_fma_f16 v67, v141, s17, -v67
	v_fma_f16 v139, v142, s17, -v139
	v_fma_f16 v141, v21, s18, v144
	v_fma_f16 v142, v24, s18, v145
	v_fma_f16 v18, v18, s2, -v144
	v_fma_f16 v21, v21, s19, -v146
	v_fma_f16 v24, v24, s19, -v147
	v_fma_f16 v27, v27, s2, -v145
	v_add_f16_e32 v68, v68, v69
	v_add_f16_e32 v72, v72, v70
	;; [unrolled: 1-line block ×6, first 2 shown]
	v_fma_f16 v70, v5, s16, v141
	v_fma_f16 v139, v28, s16, v142
	;; [unrolled: 1-line block ×6, first 2 shown]
	v_add_f16_e32 v24, v139, v68
	v_sub_f16_e32 v28, v72, v70
	v_add_f16_e32 v141, v21, v67
	v_sub_f16_e32 v142, v69, v5
	v_sub_f16_e32 v21, v67, v21
	v_add_f16_e32 v5, v5, v69
	v_sub_f16_e32 v67, v68, v139
	v_add_f16_e32 v68, v70, v72
	v_add_f16_e32 v69, v73, v78
	;; [unrolled: 1-line block ×3, first 2 shown]
	v_sub_f16_e32 v72, v73, v78
	v_sub_f16_e32 v29, v30, v29
	v_add_f16_e32 v30, v74, v77
	v_add_f16_e32 v73, v19, v34
	v_sub_f16_e32 v74, v74, v77
	v_sub_f16_e32 v19, v19, v34
	v_add_f16_e32 v34, v75, v76
	v_add_f16_e32 v77, v32, v25
	;; [unrolled: 4-line block ×3, first 2 shown]
	v_sub_f16_e32 v144, v140, v27
	v_add_f16_e32 v145, v18, v143
	v_add_f16_e32 v27, v27, v140
	v_sub_f16_e32 v18, v143, v18
	v_sub_f16_e32 v78, v30, v69
	;; [unrolled: 1-line block ×7, first 2 shown]
	v_add_f16_e32 v140, v75, v74
	v_add_f16_e32 v143, v25, v19
	v_sub_f16_e32 v146, v75, v74
	v_sub_f16_e32 v147, v25, v19
	;; [unrolled: 1-line block ×4, first 2 shown]
	v_add_f16_e32 v32, v34, v32
	v_add_f16_e32 v34, v77, v76
	v_sub_f16_e32 v75, v72, v75
	v_sub_f16_e32 v25, v29, v25
	v_add_f16_e32 v72, v140, v72
	v_add_f16_e32 v29, v143, v29
	;; [unrolled: 1-line block ×3, first 2 shown]
	v_add_f16_sdwa v15, v15, v34 dst_sel:DWORD dst_unused:UNUSED_PAD src0_sel:WORD_1 src1_sel:DWORD
	v_mul_f16_e32 v69, 0x3a52, v69
	v_mul_f16_e32 v70, 0x3a52, v70
	;; [unrolled: 1-line block ×8, first 2 shown]
	v_fma_f16 v32, v32, s12, v76
	v_fma_f16 v34, v34, s12, v15
	;; [unrolled: 1-line block ×4, first 2 shown]
	v_fma_f16 v77, v78, s13, -v77
	v_fma_f16 v140, v139, s13, -v140
	;; [unrolled: 1-line block ×4, first 2 shown]
	v_fma_f16 v78, v75, s18, v143
	v_fma_f16 v139, v25, s18, v146
	v_fma_f16 v74, v74, s2, -v143
	v_fma_f16 v75, v75, s19, -v147
	;; [unrolled: 1-line block ×4, first 2 shown]
	v_add_f16_e32 v30, v30, v32
	v_add_f16_e32 v73, v73, v34
	;; [unrolled: 1-line block ×6, first 2 shown]
	v_fma_f16 v69, v72, s16, v78
	v_fma_f16 v70, v29, s16, v139
	;; [unrolled: 1-line block ×6, first 2 shown]
	v_add_f16_e32 v29, v70, v30
	v_sub_f16_e32 v75, v73, v69
	v_add_f16_e32 v78, v25, v32
	v_sub_f16_e32 v139, v34, v72
	v_sub_f16_e32 v25, v32, v25
	v_add_f16_e32 v32, v72, v34
	v_sub_f16_e32 v30, v30, v70
	v_add_f16_e32 v34, v69, v73
	v_add_f16_e32 v69, v79, v84
	;; [unrolled: 1-line block ×3, first 2 shown]
	v_sub_f16_e32 v31, v31, v59
	v_add_f16_e32 v59, v80, v83
	v_add_f16_e32 v73, v36, v35
	v_sub_f16_e32 v143, v77, v19
	v_add_f16_e32 v19, v19, v77
	v_sub_f16_e32 v72, v79, v84
	v_sub_f16_e32 v77, v80, v83
	;; [unrolled: 1-line block ×3, first 2 shown]
	v_add_f16_e32 v36, v81, v82
	v_add_f16_e32 v79, v33, v43
	v_sub_f16_e32 v80, v82, v81
	v_sub_f16_e32 v33, v43, v33
	v_add_f16_e32 v43, v59, v69
	v_add_f16_e32 v81, v73, v70
	;; [unrolled: 1-line block ×3, first 2 shown]
	v_sub_f16_e32 v74, v140, v74
	v_sub_f16_e32 v82, v59, v69
	;; [unrolled: 1-line block ×7, first 2 shown]
	v_add_f16_e32 v84, v80, v77
	v_add_f16_e32 v140, v33, v35
	v_sub_f16_e32 v147, v80, v77
	v_sub_f16_e32 v148, v33, v35
	;; [unrolled: 1-line block ×4, first 2 shown]
	v_add_f16_e32 v36, v36, v43
	v_add_f16_e32 v43, v79, v81
	v_sub_f16_e32 v80, v72, v80
	v_sub_f16_e32 v33, v31, v33
	v_add_f16_e32 v72, v84, v72
	v_add_f16_e32 v31, v140, v31
	;; [unrolled: 1-line block ×3, first 2 shown]
	v_add_f16_sdwa v16, v16, v43 dst_sel:DWORD dst_unused:UNUSED_PAD src0_sel:WORD_1 src1_sel:DWORD
	v_mul_f16_e32 v69, 0x3a52, v69
	v_mul_f16_e32 v70, 0x3a52, v70
	;; [unrolled: 1-line block ×8, first 2 shown]
	v_fma_f16 v36, v36, s12, v79
	v_fma_f16 v43, v43, s12, v16
	;; [unrolled: 1-line block ×4, first 2 shown]
	v_fma_f16 v81, v82, s13, -v81
	v_fma_f16 v84, v83, s13, -v84
	;; [unrolled: 1-line block ×4, first 2 shown]
	v_fma_f16 v82, v80, s18, v140
	v_fma_f16 v83, v33, s18, v147
	v_fma_f16 v77, v77, s2, -v140
	v_fma_f16 v35, v35, s2, -v147
	;; [unrolled: 1-line block ×4, first 2 shown]
	v_add_f16_e32 v59, v59, v36
	v_add_f16_e32 v73, v73, v43
	;; [unrolled: 1-line block ×6, first 2 shown]
	v_fma_f16 v69, v72, s16, v82
	v_fma_f16 v70, v31, s16, v83
	;; [unrolled: 1-line block ×6, first 2 shown]
	v_add_f16_e32 v33, v70, v59
	v_sub_f16_e32 v80, v73, v69
	v_add_f16_e32 v82, v31, v36
	v_sub_f16_e32 v83, v43, v72
	v_sub_f16_e32 v31, v36, v31
	v_add_f16_e32 v36, v72, v43
	v_sub_f16_e32 v43, v59, v70
	v_add_f16_e32 v69, v69, v73
	v_add_f16_e32 v59, v85, v90
	;; [unrolled: 1-line block ×3, first 2 shown]
	v_sub_f16_e32 v60, v61, v60
	v_add_f16_e32 v61, v86, v89
	v_add_f16_e32 v73, v37, v65
	v_sub_f16_e32 v140, v81, v35
	v_add_f16_e32 v147, v77, v84
	v_add_f16_e32 v35, v35, v81
	v_sub_f16_e32 v77, v84, v77
	v_sub_f16_e32 v72, v85, v90
	;; [unrolled: 1-line block ×4, first 2 shown]
	v_add_f16_e32 v65, v87, v88
	v_add_f16_e32 v84, v63, v44
	v_sub_f16_e32 v85, v88, v87
	v_sub_f16_e32 v44, v44, v63
	v_add_f16_e32 v63, v61, v59
	v_add_f16_e32 v86, v73, v70
	v_sub_f16_e32 v87, v61, v59
	v_sub_f16_e32 v88, v73, v70
	;; [unrolled: 1-line block ×6, first 2 shown]
	v_add_f16_e32 v89, v85, v81
	v_add_f16_e32 v90, v44, v37
	v_sub_f16_e32 v148, v85, v81
	v_sub_f16_e32 v149, v44, v37
	;; [unrolled: 1-line block ×4, first 2 shown]
	v_add_f16_e32 v63, v65, v63
	v_add_f16_e32 v65, v84, v86
	v_sub_f16_e32 v85, v72, v85
	v_sub_f16_e32 v44, v60, v44
	v_add_f16_e32 v72, v89, v72
	v_add_f16_e32 v60, v90, v60
	v_add_f16_e32 v84, v17, v63
	v_add_f16_sdwa v17, v17, v65 dst_sel:DWORD dst_unused:UNUSED_PAD src0_sel:WORD_1 src1_sel:DWORD
	v_mul_f16_e32 v59, 0x3a52, v59
	v_mul_f16_e32 v70, 0x3a52, v70
	;; [unrolled: 1-line block ×8, first 2 shown]
	v_fma_f16 v63, v63, s12, v84
	v_fma_f16 v65, v65, s12, v17
	;; [unrolled: 1-line block ×4, first 2 shown]
	v_fma_f16 v86, v87, s13, -v86
	v_fma_f16 v89, v88, s13, -v89
	;; [unrolled: 1-line block ×4, first 2 shown]
	v_fma_f16 v87, v85, s18, v90
	v_fma_f16 v88, v44, s18, v148
	v_fma_f16 v81, v81, s2, -v90
	v_fma_f16 v85, v85, s19, -v149
	;; [unrolled: 1-line block ×4, first 2 shown]
	v_add_f16_e32 v61, v61, v63
	v_add_f16_e32 v73, v73, v65
	;; [unrolled: 1-line block ×6, first 2 shown]
	v_fma_f16 v65, v72, s16, v87
	v_fma_f16 v81, v72, s16, v81
	;; [unrolled: 1-line block ×6, first 2 shown]
	v_add_f16_e32 v88, v44, v59
	v_sub_f16_e32 v90, v63, v72
	v_sub_f16_e32 v44, v59, v44
	v_add_f16_e32 v63, v72, v63
	v_add_f16_e32 v59, v91, v138
	;; [unrolled: 1-line block ×3, first 2 shown]
	v_sub_f16_e32 v45, v62, v45
	v_add_f16_e32 v62, v92, v137
	v_add_f16_e32 v72, v20, v66
	;; [unrolled: 1-line block ×3, first 2 shown]
	v_sub_f16_e32 v87, v73, v65
	v_sub_f16_e32 v148, v86, v37
	v_add_f16_e32 v149, v81, v89
	v_add_f16_e32 v37, v37, v86
	v_sub_f16_e32 v81, v89, v81
	v_sub_f16_e32 v61, v61, v70
	v_add_f16_e32 v65, v65, v73
	v_sub_f16_e32 v70, v91, v138
	v_sub_f16_e32 v73, v92, v137
	;; [unrolled: 1-line block ×3, first 2 shown]
	v_add_f16_e32 v66, v93, v94
	v_add_f16_e32 v86, v64, v26
	v_sub_f16_e32 v89, v94, v93
	v_sub_f16_e32 v26, v26, v64
	v_add_f16_e32 v64, v62, v59
	v_add_f16_e32 v91, v72, v60
	v_sub_f16_e32 v92, v62, v59
	v_sub_f16_e32 v93, v72, v60
	;; [unrolled: 1-line block ×6, first 2 shown]
	v_add_f16_e32 v94, v89, v73
	v_add_f16_e32 v137, v26, v20
	v_sub_f16_e32 v138, v89, v73
	v_sub_f16_e32 v150, v26, v20
	;; [unrolled: 1-line block ×3, first 2 shown]
	v_add_f16_e32 v64, v66, v64
	v_add_f16_e32 v66, v86, v91
	v_sub_f16_e32 v89, v70, v89
	v_sub_f16_e32 v26, v45, v26
	;; [unrolled: 1-line block ×3, first 2 shown]
	v_add_f16_e32 v70, v94, v70
	v_add_f16_e32 v45, v137, v45
	v_add_f16_e32 v86, v4, v64
	v_add_f16_sdwa v4, v4, v66 dst_sel:DWORD dst_unused:UNUSED_PAD src0_sel:WORD_1 src1_sel:DWORD
	v_mul_f16_e32 v59, 0x3a52, v59
	v_mul_f16_e32 v60, 0x3a52, v60
	;; [unrolled: 1-line block ×7, first 2 shown]
	v_fma_f16 v64, v64, s12, v86
	v_fma_f16 v66, v66, s12, v4
	;; [unrolled: 1-line block ×4, first 2 shown]
	v_fma_f16 v94, v93, s13, -v94
	v_fma_f16 v59, v92, s17, -v59
	;; [unrolled: 1-line block ×3, first 2 shown]
	v_fma_f16 v93, v26, s18, v138
	v_fma_f16 v26, v26, s19, -v151
	v_fma_f16 v91, v92, s13, -v91
	v_fma_f16 v92, v89, s18, v137
	v_fma_f16 v20, v20, s2, -v138
	v_add_f16_e32 v62, v62, v64
	v_add_f16_e32 v72, v72, v66
	;; [unrolled: 1-line block ×5, first 2 shown]
	v_fma_f16 v66, v45, s16, v93
	v_fma_f16 v26, v45, s16, v26
	v_add_f16_e32 v91, v91, v64
	v_fma_f16 v64, v70, s16, v92
	v_fma_f16 v20, v45, s16, v20
	v_add_f16_e32 v45, v66, v62
	v_add_f16_e32 v92, v26, v59
	v_sub_f16_e32 v26, v59, v26
	v_sub_f16_e32 v59, v62, v66
	v_lshrrev_b32_e32 v62, 2, v126
	v_mul_u32_u24_e32 v62, 28, v62
	v_or_b32_e32 v62, v62, v11
	v_mul_f16_e32 v150, 0x3b00, v73
	v_fma_f16 v73, v73, s2, -v137
	v_lshlrev_b32_e32 v137, 2, v62
	v_pack_b32_f16 v14, v71, v14
	v_pack_b32_f16 v24, v24, v28
	ds_write2_b32 v137, v14, v24 offset1:4
	v_pack_b32_f16 v14, v141, v142
	v_pack_b32_f16 v24, v144, v145
	ds_write2_b32 v137, v14, v24 offset0:8 offset1:12
	v_pack_b32_f16 v14, v27, v18
	v_pack_b32_f16 v5, v21, v5
	ds_write2_b32 v137, v14, v5 offset0:16 offset1:20
	v_pack_b32_f16 v5, v67, v68
	ds_write_b32 v137, v5 offset:96
	v_lshrrev_b32_e32 v5, 2, v58
	v_mul_u32_u24_e32 v5, 28, v5
	v_or_b32_e32 v5, v5, v11
	v_lshlrev_b32_e32 v138, 2, v5
	v_pack_b32_f16 v5, v76, v15
	v_pack_b32_f16 v14, v29, v75
	ds_write2_b32 v138, v5, v14 offset1:4
	v_pack_b32_f16 v5, v78, v139
	v_pack_b32_f16 v14, v143, v146
	ds_write2_b32 v138, v5, v14 offset0:8 offset1:12
	v_pack_b32_f16 v5, v19, v74
	v_pack_b32_f16 v14, v25, v32
	ds_write2_b32 v138, v5, v14 offset0:16 offset1:20
	v_pack_b32_f16 v5, v30, v34
	ds_write_b32 v138, v5 offset:96
	v_lshrrev_b32_e32 v5, 2, v41
	v_mul_u32_u24_e32 v5, 28, v5
	v_or_b32_e32 v5, v5, v11
	;; [unrolled: 15-line block ×3, first 2 shown]
	v_lshlrev_b32_e32 v140, 2, v5
	v_pack_b32_f16 v5, v84, v17
	v_pack_b32_f16 v14, v85, v87
	ds_write2_b32 v140, v5, v14 offset1:4
	v_pack_b32_f16 v5, v88, v90
	v_pack_b32_f16 v14, v148, v149
	ds_write2_b32 v140, v5, v14 offset0:8 offset1:12
	v_pack_b32_f16 v5, v37, v81
	v_pack_b32_f16 v14, v44, v63
	ds_write2_b32 v140, v5, v14 offset0:16 offset1:20
	v_pack_b32_f16 v5, v61, v65
	ds_write_b32 v140, v5 offset:96
	v_lshrrev_b32_e32 v5, 2, v40
	v_fma_f16 v89, v89, s19, -v150
	v_mul_u32_u24_e32 v5, 28, v5
	v_fma_f16 v73, v70, s16, v73
	v_fma_f16 v70, v70, s16, v89
	v_sub_f16_e32 v89, v72, v64
	v_or_b32_e32 v5, v5, v11
	v_sub_f16_e32 v93, v60, v70
	v_sub_f16_e32 v150, v91, v20
	v_add_f16_e32 v151, v73, v94
	v_lshlrev_b32_e32 v141, 2, v5
	v_pack_b32_f16 v4, v86, v4
	v_pack_b32_f16 v5, v45, v89
	v_add_f16_e32 v20, v20, v91
	v_sub_f16_e32 v73, v94, v73
	v_add_f16_e32 v70, v70, v60
	ds_write2_b32 v141, v4, v5 offset1:4
	v_pack_b32_f16 v4, v92, v93
	v_pack_b32_f16 v5, v150, v151
	v_add_f16_e32 v60, v64, v72
	ds_write2_b32 v141, v4, v5 offset0:8 offset1:12
	v_pack_b32_f16 v4, v20, v73
	v_pack_b32_f16 v5, v26, v70
	ds_write2_b32 v141, v4, v5 offset0:16 offset1:20
	v_pack_b32_f16 v4, v59, v60
	ds_write_b32 v141, v4 offset:96
	s_waitcnt lgkmcnt(0)
	; wave barrier
	s_waitcnt lgkmcnt(0)
	ds_read2_b32 v[20:21], v95 offset1:56
	ds_read2_b32 v[4:5], v6 offset0:128 offset1:212
	ds_read2_b32 v[36:37], v12 offset0:12 offset1:68
	;; [unrolled: 1-line block ×9, first 2 shown]
	v_add_u32_e32 v8, 0x1600, v95
	ds_read2_b32 v[28:29], v8 offset0:76 offset1:132
	ds_read2_b32 v[10:11], v7 offset0:48 offset1:104
	;; [unrolled: 1-line block ×7, first 2 shown]
	v_lshlrev_b32_e32 v45, 2, v41
	v_lshlrev_b32_e32 v44, 2, v42
	;; [unrolled: 1-line block ×3, first 2 shown]
	s_and_saveexec_b64 s[2:3], vcc
	s_cbranch_execz .LBB0_11
; %bb.10:
	ds_read_b32 v59, v95 offset:3808
	ds_read_b32 v46, v95 offset:7728
	s_waitcnt lgkmcnt(1)
	v_lshrrev_b32_e32 v60, 16, v59
	s_waitcnt lgkmcnt(0)
	v_lshrrev_b32_e32 v47, 16, v46
.LBB0_11:
	s_or_b64 exec, exec, s[2:3]
	s_movk_i32 s2, 0xffe4
	v_add_co_u32_e64 v61, s[2:3], s2, v126
	v_addc_co_u32_e64 v62, s[2:3], 0, -1, s[2:3]
	v_cndmask_b32_e64 v62, v62, 0, vcc
	v_cndmask_b32_e32 v61, v61, v126, vcc
	v_lshlrev_b64 v[62:63], 2, v[61:62]
	v_mov_b32_e32 v87, s5
	v_add_co_u32_e64 v62, s[2:3], s4, v62
	v_addc_co_u32_e64 v63, s[2:3], v87, v63, s[2:3]
	v_lshrrev_b16_e32 v87, 2, v58
	v_lshrrev_b16_e32 v90, 2, v41
	;; [unrolled: 1-line block ×5, first 2 shown]
	v_and_b32_e32 v87, 63, v87
	v_and_b32_e32 v90, 63, v90
	;; [unrolled: 1-line block ×3, first 2 shown]
	v_lshrrev_b16_e32 v142, 2, v40
	v_mul_u32_u24_e32 v143, 0x4925, v143
	v_mul_u32_u24_e32 v144, 0x4925, v144
	v_lshrrev_b16_e32 v145, 2, v55
	v_mul_lo_u16_e32 v87, 37, v87
	v_mov_b32_e32 v88, 28
	v_mul_lo_u16_e32 v90, 37, v90
	v_mul_lo_u16_e32 v93, 37, v93
	v_mul_u32_u24_e32 v142, 0x4925, v142
	v_lshrrev_b32_e32 v167, 17, v143
	v_lshrrev_b32_e32 v168, 17, v144
	v_mul_u32_u24_e32 v145, 0x4925, v145
	v_mul_lo_u16_sdwa v89, v87, v88 dst_sel:DWORD dst_unused:UNUSED_PAD src0_sel:BYTE_1 src1_sel:DWORD
	v_mul_lo_u16_sdwa v91, v90, v88 dst_sel:DWORD dst_unused:UNUSED_PAD src0_sel:BYTE_1 src1_sel:DWORD
	;; [unrolled: 1-line block ×3, first 2 shown]
	v_lshrrev_b32_e32 v165, 17, v142
	v_mul_lo_u16_e32 v143, 28, v167
	v_mul_lo_u16_e32 v144, 28, v168
	v_lshrrev_b32_e32 v169, 17, v145
	v_sub_u16_e32 v58, v58, v89
	v_sub_u16_e32 v91, v41, v91
	;; [unrolled: 1-line block ×3, first 2 shown]
	v_mul_lo_u16_e32 v142, 28, v165
	v_sub_u16_e32 v57, v57, v143
	v_sub_u16_e32 v56, v56, v144
	v_mul_lo_u16_e32 v145, 28, v169
	v_and_b32_e32 v58, 0xff, v58
	v_and_b32_e32 v91, 0xff, v91
	;; [unrolled: 1-line block ×3, first 2 shown]
	v_sub_u16_e32 v166, v40, v142
	v_lshlrev_b32_e32 v143, 2, v57
	v_lshlrev_b32_e32 v144, 2, v56
	v_sub_u16_e32 v55, v55, v145
	v_lshlrev_b32_e32 v89, 2, v58
	v_lshlrev_b32_e32 v92, 2, v91
	v_lshlrev_b32_e32 v94, 2, v88
	v_lshlrev_b32_e32 v142, 2, v166
	v_lshlrev_b32_e32 v152, 2, v55
	global_load_dword v151, v[62:63], off offset:96
	global_load_dword v150, v89, s[4:5] offset:96
	global_load_dword v149, v92, s[4:5] offset:96
	;; [unrolled: 1-line block ×6, first 2 shown]
	s_nop 0
	global_load_dword v144, v152, s[4:5] offset:96
	v_add_u16_e32 v143, 0x230, v126
	v_lshrrev_b16_e32 v152, 2, v143
	v_mul_u32_u24_e32 v152, 0x4925, v152
	v_lshrrev_b32_e32 v171, 17, v152
	v_mul_lo_u16_e32 v152, 28, v171
	v_sub_u16_e32 v172, v143, v152
	v_add_u16_e32 v152, 0x268, v126
	v_lshrrev_b16_e32 v153, 2, v152
	v_mul_u32_u24_e32 v153, 0x4925, v153
	v_lshrrev_b32_e32 v173, 17, v153
	v_mul_lo_u16_e32 v153, 28, v173
	v_sub_u16_e32 v174, v152, v153
	v_add_u16_e32 v153, 0x2a0, v126
	v_lshrrev_b16_e32 v154, 2, v153
	v_mul_u32_u24_e32 v154, 0x4925, v154
	v_add_u16_e32 v92, 0x1f8, v126
	v_lshrrev_b32_e32 v175, 17, v154
	v_lshrrev_b16_e32 v62, 2, v48
	v_lshrrev_b16_e32 v94, 2, v92
	v_mul_lo_u16_e32 v154, 28, v175
	v_mul_u32_u24_e32 v62, 0x4925, v62
	v_mul_u32_u24_e32 v94, 0x4925, v94
	v_sub_u16_e32 v176, v153, v154
	v_add_u16_e32 v153, 0x2d8, v126
	v_lshrrev_b32_e32 v62, 17, v62
	v_lshrrev_b32_e32 v94, 17, v94
	v_lshrrev_b16_e32 v154, 2, v153
	v_mul_lo_u16_e32 v63, 28, v62
	v_mul_lo_u16_e32 v142, 28, v94
	v_mul_u32_u24_e32 v154, 0x4925, v154
	v_sub_u16_e32 v63, v48, v63
	v_sub_u16_e32 v92, v92, v142
	v_lshrrev_b32_e32 v177, 17, v154
	v_lshlrev_b32_e32 v89, 2, v63
	v_lshlrev_b32_e32 v142, 2, v92
	v_mul_lo_u16_e32 v154, 28, v177
	v_add_u16_e32 v155, 0x310, v126
	v_sub_u16_e32 v178, v153, v154
	global_load_dword v153, v89, s[4:5] offset:96
	global_load_dword v154, v142, s[4:5] offset:96
	v_lshrrev_b16_e32 v89, 2, v155
	v_mul_u32_u24_e32 v89, 0x4925, v89
	v_lshrrev_b32_e32 v89, 17, v89
	v_lshlrev_b32_e32 v143, 2, v172
	v_mul_lo_u16_e32 v142, 28, v89
	v_sub_u16_e32 v179, v155, v142
	global_load_dword v155, v143, s[4:5] offset:96
	v_add_u16_e32 v143, 0x348, v126
	v_lshrrev_b16_e32 v158, 2, v143
	v_mul_u32_u24_e32 v159, 0x4925, v158
	v_lshlrev_b32_e32 v152, 2, v174
	v_lshlrev_b32_e32 v156, 2, v176
	v_lshrrev_b32_e32 v180, 17, v159
	global_load_dword v158, v152, s[4:5] offset:96
	global_load_dword v159, v156, s[4:5] offset:96
	v_mul_lo_u16_e32 v152, 28, v180
	v_lshlrev_b32_e32 v157, 2, v178
	v_lshlrev_b32_e32 v142, 2, v179
	v_sub_u16_e32 v183, v143, v152
	v_lshlrev_b32_e32 v143, 2, v183
	global_load_dword v157, v157, s[4:5] offset:96
	s_nop 0
	global_load_dword v156, v142, s[4:5] offset:96
	global_load_dword v152, v143, s[4:5] offset:96
	v_or_b32_e32 v142, 0x380, v126
	v_lshrrev_b16_e32 v143, 2, v142
	v_mul_u32_u24_e32 v143, 0x4925, v143
	v_lshrrev_b32_e32 v184, 17, v143
	v_mul_lo_u16_e32 v143, 28, v184
	v_sub_u16_e32 v185, v142, v143
	v_add_u16_e32 v143, 0x3b8, v126
	v_lshrrev_b16_e32 v160, 2, v143
	v_mul_u32_u24_e32 v160, 0x4925, v160
	v_lshlrev_b32_e32 v142, 2, v185
	v_lshrrev_b32_e32 v161, 17, v160
	global_load_dword v160, v142, s[4:5] offset:96
	v_mul_lo_u16_e32 v142, 28, v161
	v_sub_u16_e32 v142, v143, v142
	v_lshlrev_b32_e32 v142, 2, v142
	global_load_dword v143, v142, s[4:5] offset:96
	s_waitcnt lgkmcnt(14)
	v_lshrrev_b32_e32 v65, 16, v5
	s_waitcnt vmcnt(17)
	v_mul_f16_sdwa v190, v65, v151 dst_sel:DWORD dst_unused:UNUSED_PAD src0_sel:DWORD src1_sel:WORD_1
	v_lshrrev_b32_e32 v67, 16, v36
	v_fma_f16 v190, v5, v151, -v190
	v_mul_f16_sdwa v5, v5, v151 dst_sel:DWORD dst_unused:UNUSED_PAD src0_sel:DWORD src1_sel:WORD_1
	v_fma_f16 v5, v65, v151, v5
	s_waitcnt vmcnt(16)
	v_mul_f16_sdwa v65, v67, v150 dst_sel:DWORD dst_unused:UNUSED_PAD src0_sel:DWORD src1_sel:WORD_1
	v_lshrrev_b32_e32 v69, 16, v37
	v_fma_f16 v65, v36, v150, -v65
	v_mul_f16_sdwa v36, v36, v150 dst_sel:DWORD dst_unused:UNUSED_PAD src0_sel:DWORD src1_sel:WORD_1
	v_fma_f16 v36, v67, v150, v36
	s_waitcnt vmcnt(15)
	v_mul_f16_sdwa v67, v69, v149 dst_sel:DWORD dst_unused:UNUSED_PAD src0_sel:DWORD src1_sel:WORD_1
	s_waitcnt lgkmcnt(12)
	v_lshrrev_b32_e32 v71, 16, v34
	v_fma_f16 v67, v37, v149, -v67
	v_mul_f16_sdwa v37, v37, v149 dst_sel:DWORD dst_unused:UNUSED_PAD src0_sel:DWORD src1_sel:WORD_1
	v_fma_f16 v37, v69, v149, v37
	s_waitcnt vmcnt(14)
	v_mul_f16_sdwa v69, v71, v148 dst_sel:DWORD dst_unused:UNUSED_PAD src0_sel:DWORD src1_sel:WORD_1
	v_lshrrev_b32_e32 v73, 16, v35
	v_fma_f16 v69, v34, v148, -v69
	v_mul_f16_sdwa v34, v34, v148 dst_sel:DWORD dst_unused:UNUSED_PAD src0_sel:DWORD src1_sel:WORD_1
	v_fma_f16 v34, v71, v148, v34
	s_waitcnt vmcnt(13)
	v_mul_f16_sdwa v71, v73, v147 dst_sel:DWORD dst_unused:UNUSED_PAD src0_sel:DWORD src1_sel:WORD_1
	s_waitcnt lgkmcnt(10)
	;; [unrolled: 13-line block ×7, first 2 shown]
	v_lshrrev_b32_e32 v187, 16, v22
	v_fma_f16 v170, v25, v156, -v170
	v_mul_f16_sdwa v25, v25, v156 dst_sel:DWORD dst_unused:UNUSED_PAD src0_sel:DWORD src1_sel:WORD_1
	v_fma_f16 v25, v182, v156, v25
	s_waitcnt vmcnt(2)
	v_mul_f16_sdwa v182, v187, v152 dst_sel:DWORD dst_unused:UNUSED_PAD src0_sel:DWORD src1_sel:WORD_1
	v_lshrrev_b32_e32 v189, 16, v23
	v_fma_f16 v182, v22, v152, -v182
	v_mul_f16_sdwa v22, v22, v152 dst_sel:DWORD dst_unused:UNUSED_PAD src0_sel:DWORD src1_sel:WORD_1
	v_fma_f16 v22, v187, v152, v22
	s_waitcnt vmcnt(1)
	v_mul_f16_sdwa v187, v189, v160 dst_sel:DWORD dst_unused:UNUSED_PAD src0_sel:DWORD src1_sel:WORD_1
	v_fma_f16 v187, v23, v160, -v187
	v_mul_f16_sdwa v23, v23, v160 dst_sel:DWORD dst_unused:UNUSED_PAD src0_sel:DWORD src1_sel:WORD_1
	v_fma_f16 v23, v189, v160, v23
	s_waitcnt vmcnt(0)
	v_mul_f16_sdwa v189, v47, v143 dst_sel:DWORD dst_unused:UNUSED_PAD src0_sel:DWORD src1_sel:WORD_1
	v_lshrrev_b32_e32 v64, 16, v20
	v_fma_f16 v189, v46, v143, -v189
	v_mul_f16_sdwa v46, v46, v143 dst_sel:DWORD dst_unused:UNUSED_PAD src0_sel:DWORD src1_sel:WORD_1
	v_fma_f16 v46, v47, v143, v46
	v_sub_f16_e32 v47, v20, v190
	v_sub_f16_e32 v5, v64, v5
	;; [unrolled: 1-line block ×3, first 2 shown]
	v_cmp_lt_u16_e64 s[2:3], 27, v126
	v_lshrrev_b32_e32 v72, 16, v16
	v_fma_f16 v20, v20, 2.0, -v47
	v_fma_f16 v64, v64, 2.0, -v5
	;; [unrolled: 1-line block ×3, first 2 shown]
	v_cndmask_b32_e64 v16, 0, 56, s[2:3]
	v_lshrrev_b32_e32 v66, 16, v21
	v_sub_f16_e32 v191, v8, v161
	v_add_lshl_u32 v161, v61, v16, 2
	v_pack_b32_f16 v16, v20, v64
	v_pack_b32_f16 v5, v47, v5
	v_lshrrev_b32_e32 v162, 16, v8
	v_sub_f16_e32 v65, v21, v65
	v_sub_f16_e32 v36, v66, v36
	s_waitcnt lgkmcnt(0)
	; wave barrier
	ds_write2_b32 v161, v16, v5 offset1:28
	v_mov_b32_e32 v16, 56
	v_lshrrev_b32_e32 v68, 16, v18
	v_fma_f16 v21, v21, 2.0, -v65
	v_fma_f16 v66, v66, 2.0, -v36
	v_sub_f16_e32 v27, v162, v27
	v_mul_u32_u24_sdwa v5, v87, v16 dst_sel:DWORD dst_unused:UNUSED_PAD src0_sel:BYTE_1 src1_sel:DWORD
	v_sub_f16_e32 v67, v18, v67
	v_sub_f16_e32 v37, v68, v37
	v_fma_f16 v192, v162, 2.0, -v27
	v_add_lshl_u32 v162, v5, v58, 2
	v_pack_b32_f16 v5, v21, v66
	v_pack_b32_f16 v20, v65, v36
	v_lshrrev_b32_e32 v70, 16, v19
	v_fma_f16 v18, v18, 2.0, -v67
	v_fma_f16 v68, v68, 2.0, -v37
	ds_write2_b32 v162, v5, v20 offset1:28
	v_mul_u32_u24_sdwa v5, v90, v16 dst_sel:DWORD dst_unused:UNUSED_PAD src0_sel:BYTE_1 src1_sel:DWORD
	v_lshrrev_b32_e32 v164, 16, v9
	v_sub_f16_e32 v69, v19, v69
	v_sub_f16_e32 v34, v70, v34
	;; [unrolled: 1-line block ×3, first 2 shown]
	v_add_lshl_u32 v163, v5, v91, 2
	v_pack_b32_f16 v5, v18, v68
	v_pack_b32_f16 v18, v67, v37
	v_fma_f16 v19, v19, 2.0, -v69
	v_fma_f16 v70, v70, 2.0, -v34
	v_sub_f16_e32 v24, v164, v24
	ds_write2_b32 v163, v5, v18 offset1:28
	v_mul_u32_u24_sdwa v5, v93, v16 dst_sel:DWORD dst_unused:UNUSED_PAD src0_sel:BYTE_1 src1_sel:DWORD
	v_sub_f16_e32 v35, v72, v35
	v_fma_f16 v194, v164, 2.0, -v24
	v_add_lshl_u32 v164, v5, v88, 2
	v_pack_b32_f16 v5, v19, v70
	v_pack_b32_f16 v18, v69, v34
	v_lshrrev_b32_e32 v74, 16, v17
	v_fma_f16 v72, v72, 2.0, -v35
	ds_write2_b32 v164, v5, v18 offset1:28
	v_mad_legacy_u16 v5, v165, 56, v166
	v_sub_f16_e32 v73, v17, v73
	v_sub_f16_e32 v32, v74, v32
	v_lshlrev_b32_e32 v165, 2, v5
	v_pack_b32_f16 v5, v190, v72
	v_pack_b32_f16 v18, v71, v35
	v_lshrrev_b32_e32 v76, 16, v14
	v_fma_f16 v17, v17, 2.0, -v73
	v_fma_f16 v74, v74, 2.0, -v32
	ds_write2_b32 v165, v5, v18 offset1:28
	v_mad_legacy_u16 v5, v167, 56, v57
	v_sub_f16_e32 v75, v14, v75
	v_sub_f16_e32 v33, v76, v33
	v_lshlrev_b32_e32 v166, 2, v5
	v_pack_b32_f16 v5, v17, v74
	v_pack_b32_f16 v17, v73, v32
	v_lshrrev_b32_e32 v78, 16, v15
	v_fma_f16 v14, v14, 2.0, -v75
	;; [unrolled: 10-line block ×5, first 2 shown]
	v_fma_f16 v82, v82, 2.0, -v28
	ds_write2_b32 v169, v5, v12 offset1:28
	v_mad_legacy_u16 v5, v94, 56, v92
	v_sub_f16_e32 v83, v10, v83
	v_sub_f16_e32 v29, v84, v29
	;; [unrolled: 1-line block ×3, first 2 shown]
	v_lshlrev_b32_e32 v170, 2, v5
	v_pack_b32_f16 v5, v13, v82
	v_pack_b32_f16 v12, v81, v28
	v_lshrrev_b32_e32 v86, 16, v11
	v_fma_f16 v10, v10, 2.0, -v83
	v_fma_f16 v84, v84, 2.0, -v29
	ds_write2_b32 v170, v5, v12 offset1:28
	v_mad_legacy_u16 v5, v171, 56, v172
	v_sub_f16_e32 v85, v11, v85
	v_sub_f16_e32 v26, v86, v26
	v_lshlrev_b32_e32 v171, 2, v5
	v_pack_b32_f16 v5, v10, v84
	v_pack_b32_f16 v10, v83, v29
	v_fma_f16 v11, v11, 2.0, -v85
	v_fma_f16 v86, v86, 2.0, -v26
	ds_write2_b32 v171, v5, v10 offset1:28
	v_mad_legacy_u16 v5, v173, 56, v174
	v_lshlrev_b32_e32 v172, 2, v5
	v_pack_b32_f16 v5, v11, v86
	v_pack_b32_f16 v10, v85, v26
	v_fma_f16 v8, v8, 2.0, -v191
	ds_write2_b32 v172, v5, v10 offset1:28
	v_mad_legacy_u16 v5, v175, 56, v176
	v_lshlrev_b32_e32 v173, 2, v5
	v_pack_b32_f16 v5, v8, v192
	v_pack_b32_f16 v8, v191, v27
	v_lshrrev_b32_e32 v181, 16, v6
	v_fma_f16 v9, v9, 2.0, -v193
	ds_write2_b32 v173, v5, v8 offset1:28
	v_mad_legacy_u16 v5, v177, 56, v178
	v_sub_f16_e32 v25, v181, v25
	v_lshlrev_b32_e32 v174, 2, v5
	v_pack_b32_f16 v5, v9, v194
	v_pack_b32_f16 v8, v193, v24
	v_lshrrev_b32_e32 v186, 16, v7
	v_fma_f16 v6, v6, 2.0, -v195
	v_fma_f16 v196, v181, 2.0, -v25
	ds_write2_b32 v174, v5, v8 offset1:28
	v_mad_legacy_u16 v5, v89, 56, v179
	v_sub_f16_e32 v197, v7, v182
	v_sub_f16_e32 v22, v186, v22
	v_lshlrev_b32_e32 v175, 2, v5
	v_pack_b32_f16 v5, v6, v196
	v_pack_b32_f16 v6, v195, v25
	v_lshrrev_b32_e32 v188, 16, v4
	v_fma_f16 v7, v7, 2.0, -v197
	v_fma_f16 v186, v186, 2.0, -v22
	ds_write2_b32 v175, v5, v6 offset1:28
	v_mad_legacy_u16 v5, v180, 56, v183
	v_sub_f16_e32 v187, v4, v187
	v_sub_f16_e32 v23, v188, v23
	v_lshlrev_b32_e32 v176, 2, v5
	v_pack_b32_f16 v5, v7, v186
	v_pack_b32_f16 v6, v197, v22
	v_fma_f16 v4, v4, 2.0, -v187
	v_fma_f16 v188, v188, 2.0, -v23
	ds_write2_b32 v176, v5, v6 offset1:28
	v_mad_legacy_u16 v5, v184, 56, v185
	v_sub_f16_e32 v181, v59, v189
	v_sub_f16_e32 v182, v60, v46
	v_lshlrev_b32_e32 v177, 2, v5
	v_pack_b32_f16 v4, v4, v188
	v_pack_b32_f16 v5, v187, v23
	ds_write2_b32 v177, v4, v5 offset1:28
	s_and_saveexec_b64 s[2:3], vcc
	s_cbranch_execz .LBB0_13
; %bb.12:
	v_fma_f16 v4, v59, 2.0, -v181
	v_fma_f16 v5, v60, 2.0, -v182
	s_mov_b32 s12, 0x5040100
	v_pack_b32_f16 v4, v4, v5
	v_perm_b32 v5, v182, v181, s12
	v_add_u32_e32 v6, 0x1c00, v142
	ds_write2_b32 v6, v4, v5 offset0:112 offset1:140
.LBB0_13:
	s_or_b64 exec, exec, s[2:3]
	v_mad_u64_u32 v[8:9], s[2:3], v126, 24, s[4:5]
	s_waitcnt lgkmcnt(0)
	; wave barrier
	s_waitcnt lgkmcnt(0)
	global_load_dwordx4 v[4:7], v[8:9], off offset:208
	global_load_dwordx2 v[55:56], v[8:9], off offset:224
	v_lshrrev_b16_e32 v10, 3, v41
	v_lshrrev_b16_e32 v8, 3, v42
	v_and_b32_e32 v9, 31, v10
	v_and_b32_e32 v8, 31, v8
	v_mul_lo_u16_e32 v9, 37, v9
	v_mul_lo_u16_e32 v8, 37, v8
	v_mul_lo_u16_sdwa v9, v9, v16 dst_sel:DWORD dst_unused:UNUSED_PAD src0_sel:BYTE_1 src1_sel:DWORD
	v_mul_lo_u16_sdwa v8, v8, v16 dst_sel:DWORD dst_unused:UNUSED_PAD src0_sel:BYTE_1 src1_sel:DWORD
	v_sub_u16_e32 v9, v41, v9
	v_sub_u16_e32 v8, v42, v8
	v_and_b32_e32 v25, 0xff, v9
	v_and_b32_e32 v24, 0xff, v8
	v_mad_u64_u32 v[8:9], s[2:3], v25, 24, s[4:5]
	v_add_u32_e32 v66, 0x200, v95
	ds_read2_b32 v[26:27], v95 offset1:56
	v_add_u32_e32 v67, 0x800, v95
	v_add_u32_e32 v65, 0xc00, v95
	;; [unrolled: 1-line block ×6, first 2 shown]
	ds_read2_b32 v[20:21], v95 offset0:112 offset1:168
	v_add_u32_e32 v69, 0x1200, v95
	v_add_u32_e32 v183, 0x1c00, v95
	;; [unrolled: 1-line block ×3, first 2 shown]
	ds_read_b32 v78, v95 offset:7616
	ds_read2_b32 v[22:23], v66 offset0:96 offset1:152
	ds_read2_b32 v[28:29], v67 offset0:48 offset1:104
	;; [unrolled: 1-line block ×11, first 2 shown]
	ds_read2_b32 v[76:77], v183 offset1:56
	ds_read2_b32 v[83:84], v81 offset0:192 offset1:248
	ds_read2_b32 v[85:86], v68 offset0:112 offset1:168
	;; [unrolled: 1-line block ×3, first 2 shown]
	s_waitcnt lgkmcnt(14)
	v_lshrrev_b32_e32 v10, 16, v23
	s_waitcnt lgkmcnt(13)
	v_lshrrev_b32_e32 v19, 16, v28
	global_load_dwordx4 v[12:15], v[8:9], off offset:208
	global_load_dwordx2 v[57:58], v[8:9], off offset:224
	s_waitcnt lgkmcnt(12)
	v_lshrrev_b32_e32 v42, 16, v31
	v_mad_u64_u32 v[17:18], s[2:3], v24, 24, s[4:5]
	s_waitcnt lgkmcnt(11)
	v_lshrrev_b32_e32 v59, 16, v32
	s_waitcnt lgkmcnt(10)
	v_lshrrev_b32_e32 v61, 16, v35
	;; [unrolled: 2-line block ×4, first 2 shown]
	v_lshrrev_b32_e32 v90, 16, v29
	s_waitcnt lgkmcnt(7)
	v_lshrrev_b32_e32 v91, 16, v63
	v_lshrrev_b32_e32 v92, 16, v33
	s_waitcnt lgkmcnt(6)
	v_lshrrev_b32_e32 v93, 16, v70
	v_lshrrev_b32_e32 v94, 16, v37
	;; [unrolled: 1-line block ×3, first 2 shown]
	s_waitcnt lgkmcnt(5)
	v_lshrrev_b32_e32 v179, 16, v72
	v_lshrrev_b32_e32 v180, 16, v64
	s_waitcnt lgkmcnt(4)
	v_lshrrev_b32_e32 v184, 16, v74
	v_lshrrev_b32_e32 v185, 16, v71
	s_waitcnt lgkmcnt(3)
	v_lshrrev_b32_e32 v186, 16, v76
	s_waitcnt lgkmcnt(2)
	v_lshrrev_b32_e32 v187, 16, v83
	v_lshrrev_b32_e32 v188, 16, v73
	s_waitcnt lgkmcnt(1)
	v_lshrrev_b32_e32 v189, 16, v85
	v_lshrrev_b32_e32 v190, 16, v75
	s_waitcnt lgkmcnt(0)
	v_lshrrev_b32_e32 v191, 16, v87
	v_lshrrev_b32_e32 v192, 16, v77
	v_lshrrev_b32_e32 v193, 16, v84
	;; [unrolled: 1-line block ×7, first 2 shown]
	s_mov_b32 s12, 0xbcab
	s_waitcnt vmcnt(3)
	v_mul_f16_sdwa v8, v10, v4 dst_sel:DWORD dst_unused:UNUSED_PAD src0_sel:DWORD src1_sel:WORD_1
	v_mul_f16_sdwa v9, v23, v4 dst_sel:DWORD dst_unused:UNUSED_PAD src0_sel:DWORD src1_sel:WORD_1
	v_fma_f16 v198, v23, v4, -v8
	v_mul_f16_sdwa v8, v19, v5 dst_sel:DWORD dst_unused:UNUSED_PAD src0_sel:DWORD src1_sel:WORD_1
	v_mul_f16_sdwa v23, v28, v5 dst_sel:DWORD dst_unused:UNUSED_PAD src0_sel:DWORD src1_sel:WORD_1
	v_fma_f16 v200, v28, v5, -v8
	v_fma_f16 v28, v19, v5, v23
	v_mul_f16_sdwa v19, v42, v6 dst_sel:DWORD dst_unused:UNUSED_PAD src0_sel:DWORD src1_sel:WORD_1
	v_fma_f16 v201, v31, v6, -v19
	v_mul_f16_sdwa v19, v31, v6 dst_sel:DWORD dst_unused:UNUSED_PAD src0_sel:DWORD src1_sel:WORD_1
	v_fma_f16 v42, v42, v6, v19
	v_mul_f16_sdwa v19, v59, v7 dst_sel:DWORD dst_unused:UNUSED_PAD src0_sel:DWORD src1_sel:WORD_1
	v_fma_f16 v202, v32, v7, -v19
	v_mul_f16_sdwa v19, v32, v7 dst_sel:DWORD dst_unused:UNUSED_PAD src0_sel:DWORD src1_sel:WORD_1
	v_fma_f16 v199, v10, v4, v9
	global_load_dwordx4 v[8:11], v[17:18], off offset:208
	v_fma_f16 v203, v59, v7, v19
	global_load_dwordx2 v[59:60], v[17:18], off offset:224
	v_lshrrev_b16_e32 v17, 3, v40
	v_mul_u32_u24_e32 v17, 0x2493, v17
	v_mul_lo_u16_sdwa v16, v17, v16 dst_sel:DWORD dst_unused:UNUSED_PAD src0_sel:WORD_1 src1_sel:DWORD
	v_sub_u16_e32 v23, v40, v16
	v_mul_lo_u16_e32 v16, 24, v23
	s_waitcnt vmcnt(4)
	v_mul_f16_sdwa v19, v61, v55 dst_sel:DWORD dst_unused:UNUSED_PAD src0_sel:DWORD src1_sel:WORD_1
	v_mov_b32_e32 v17, s5
	v_add_co_u32_e64 v31, s[2:3], s4, v16
	v_fma_f16 v204, v35, v55, -v19
	v_addc_co_u32_e64 v32, s[2:3], 0, v17, s[2:3]
	v_mul_f16_sdwa v35, v35, v55 dst_sel:DWORD dst_unused:UNUSED_PAD src0_sel:DWORD src1_sel:WORD_1
	global_load_dwordx4 v[16:19], v[31:32], off offset:208
	v_fma_f16 v35, v61, v55, v35
	v_mul_f16_sdwa v40, v62, v56 dst_sel:DWORD dst_unused:UNUSED_PAD src0_sel:DWORD src1_sel:WORD_1
	v_mul_f16_sdwa v61, v89, v4 dst_sel:DWORD dst_unused:UNUSED_PAD src0_sel:DWORD src1_sel:WORD_1
	v_fma_f16 v40, v36, v56, -v40
	v_mul_f16_sdwa v36, v36, v56 dst_sel:DWORD dst_unused:UNUSED_PAD src0_sel:DWORD src1_sel:WORD_1
	v_fma_f16 v205, v46, v4, -v61
	v_mul_f16_sdwa v46, v46, v4 dst_sel:DWORD dst_unused:UNUSED_PAD src0_sel:DWORD src1_sel:WORD_1
	v_mul_f16_sdwa v61, v90, v5 dst_sel:DWORD dst_unused:UNUSED_PAD src0_sel:DWORD src1_sel:WORD_1
	v_fma_f16 v36, v62, v56, v36
	v_fma_f16 v46, v89, v4, v46
	v_fma_f16 v89, v29, v5, -v61
	global_load_dwordx2 v[61:62], v[31:32], off offset:224
	v_mul_f16_sdwa v29, v29, v5 dst_sel:DWORD dst_unused:UNUSED_PAD src0_sel:DWORD src1_sel:WORD_1
	v_fma_f16 v29, v90, v5, v29
	v_mul_f16_sdwa v90, v91, v6 dst_sel:DWORD dst_unused:UNUSED_PAD src0_sel:DWORD src1_sel:WORD_1
	v_mul_f16_sdwa v32, v63, v6 dst_sel:DWORD dst_unused:UNUSED_PAD src0_sel:DWORD src1_sel:WORD_1
	v_fma_f16 v31, v63, v6, -v90
	v_fma_f16 v32, v91, v6, v32
	v_mul_f16_sdwa v63, v92, v7 dst_sel:DWORD dst_unused:UNUSED_PAD src0_sel:DWORD src1_sel:WORD_1
	v_mul_f16_sdwa v90, v93, v55 dst_sel:DWORD dst_unused:UNUSED_PAD src0_sel:DWORD src1_sel:WORD_1
	;; [unrolled: 1-line block ×3, first 2 shown]
	v_fma_f16 v63, v33, v7, -v63
	v_mul_f16_sdwa v33, v33, v7 dst_sel:DWORD dst_unused:UNUSED_PAD src0_sel:DWORD src1_sel:WORD_1
	v_fma_f16 v90, v70, v55, -v90
	v_mul_f16_sdwa v70, v70, v55 dst_sel:DWORD dst_unused:UNUSED_PAD src0_sel:DWORD src1_sel:WORD_1
	;; [unrolled: 2-line block ×3, first 2 shown]
	v_fma_f16 v33, v92, v7, v33
	v_fma_f16 v70, v93, v55, v70
	;; [unrolled: 1-line block ×3, first 2 shown]
	s_waitcnt vmcnt(5)
	v_mul_f16_sdwa v92, v178, v12 dst_sel:DWORD dst_unused:UNUSED_PAD src0_sel:DWORD src1_sel:WORD_1
	v_mul_f16_sdwa v93, v179, v13 dst_sel:DWORD dst_unused:UNUSED_PAD src0_sel:DWORD src1_sel:WORD_1
	;; [unrolled: 1-line block ×3, first 2 shown]
	v_fma_f16 v92, v47, v12, -v92
	v_mul_f16_sdwa v47, v47, v12 dst_sel:DWORD dst_unused:UNUSED_PAD src0_sel:DWORD src1_sel:WORD_1
	v_fma_f16 v93, v72, v13, -v93
	v_mul_f16_sdwa v72, v72, v13 dst_sel:DWORD dst_unused:UNUSED_PAD src0_sel:DWORD src1_sel:WORD_1
	;; [unrolled: 2-line block ×3, first 2 shown]
	v_fma_f16 v47, v178, v12, v47
	v_fma_f16 v72, v179, v13, v72
	;; [unrolled: 1-line block ×3, first 2 shown]
	v_mul_f16_sdwa v178, v184, v15 dst_sel:DWORD dst_unused:UNUSED_PAD src0_sel:DWORD src1_sel:WORD_1
	s_waitcnt vmcnt(4)
	v_mul_f16_sdwa v179, v185, v57 dst_sel:DWORD dst_unused:UNUSED_PAD src0_sel:DWORD src1_sel:WORD_1
	v_mul_f16_sdwa v180, v186, v58 dst_sel:DWORD dst_unused:UNUSED_PAD src0_sel:DWORD src1_sel:WORD_1
	v_fma_f16 v178, v74, v15, -v178
	v_mul_f16_sdwa v74, v74, v15 dst_sel:DWORD dst_unused:UNUSED_PAD src0_sel:DWORD src1_sel:WORD_1
	v_fma_f16 v179, v71, v57, -v179
	;; [unrolled: 2-line block ×3, first 2 shown]
	v_mul_f16_sdwa v76, v76, v58 dst_sel:DWORD dst_unused:UNUSED_PAD src0_sel:DWORD src1_sel:WORD_1
	v_fma_f16 v74, v184, v15, v74
	v_fma_f16 v71, v185, v57, v71
	;; [unrolled: 1-line block ×3, first 2 shown]
	s_movk_i32 s3, 0x2b26
	s_movk_i32 s2, 0x3b00
	s_waitcnt lgkmcnt(0)
	; wave barrier
	s_waitcnt vmcnt(3)
	v_mul_f16_sdwa v184, v187, v8 dst_sel:DWORD dst_unused:UNUSED_PAD src0_sel:DWORD src1_sel:WORD_1
	v_mul_f16_sdwa v185, v188, v9 dst_sel:DWORD dst_unused:UNUSED_PAD src0_sel:DWORD src1_sel:WORD_1
	;; [unrolled: 1-line block ×3, first 2 shown]
	v_fma_f16 v184, v83, v8, -v184
	v_mul_f16_sdwa v83, v83, v8 dst_sel:DWORD dst_unused:UNUSED_PAD src0_sel:DWORD src1_sel:WORD_1
	v_fma_f16 v185, v73, v9, -v185
	v_mul_f16_sdwa v73, v73, v9 dst_sel:DWORD dst_unused:UNUSED_PAD src0_sel:DWORD src1_sel:WORD_1
	;; [unrolled: 2-line block ×3, first 2 shown]
	v_fma_f16 v83, v187, v8, v83
	v_fma_f16 v73, v188, v9, v73
	;; [unrolled: 1-line block ×3, first 2 shown]
	v_mul_f16_sdwa v187, v190, v11 dst_sel:DWORD dst_unused:UNUSED_PAD src0_sel:DWORD src1_sel:WORD_1
	s_waitcnt vmcnt(2)
	v_mul_f16_sdwa v188, v191, v59 dst_sel:DWORD dst_unused:UNUSED_PAD src0_sel:DWORD src1_sel:WORD_1
	v_mul_f16_sdwa v189, v192, v60 dst_sel:DWORD dst_unused:UNUSED_PAD src0_sel:DWORD src1_sel:WORD_1
	v_fma_f16 v187, v75, v11, -v187
	v_mul_f16_sdwa v75, v75, v11 dst_sel:DWORD dst_unused:UNUSED_PAD src0_sel:DWORD src1_sel:WORD_1
	v_fma_f16 v188, v87, v59, -v188
	;; [unrolled: 2-line block ×3, first 2 shown]
	v_mul_f16_sdwa v77, v77, v60 dst_sel:DWORD dst_unused:UNUSED_PAD src0_sel:DWORD src1_sel:WORD_1
	v_fma_f16 v75, v190, v11, v75
	v_fma_f16 v87, v191, v59, v87
	;; [unrolled: 1-line block ×3, first 2 shown]
	s_waitcnt vmcnt(1)
	v_mul_f16_sdwa v190, v193, v16 dst_sel:DWORD dst_unused:UNUSED_PAD src0_sel:DWORD src1_sel:WORD_1
	v_mul_f16_sdwa v191, v194, v17 dst_sel:DWORD dst_unused:UNUSED_PAD src0_sel:DWORD src1_sel:WORD_1
	;; [unrolled: 1-line block ×3, first 2 shown]
	v_fma_f16 v190, v84, v16, -v190
	v_mul_f16_sdwa v84, v84, v16 dst_sel:DWORD dst_unused:UNUSED_PAD src0_sel:DWORD src1_sel:WORD_1
	v_fma_f16 v191, v30, v17, -v191
	v_mul_f16_sdwa v30, v30, v17 dst_sel:DWORD dst_unused:UNUSED_PAD src0_sel:DWORD src1_sel:WORD_1
	;; [unrolled: 2-line block ×3, first 2 shown]
	v_fma_f16 v84, v193, v16, v84
	v_fma_f16 v30, v194, v17, v30
	;; [unrolled: 1-line block ×3, first 2 shown]
	v_mul_f16_sdwa v193, v196, v19 dst_sel:DWORD dst_unused:UNUSED_PAD src0_sel:DWORD src1_sel:WORD_1
	s_waitcnt vmcnt(0)
	v_mul_f16_sdwa v194, v197, v61 dst_sel:DWORD dst_unused:UNUSED_PAD src0_sel:DWORD src1_sel:WORD_1
	v_mul_f16_sdwa v195, v41, v62 dst_sel:DWORD dst_unused:UNUSED_PAD src0_sel:DWORD src1_sel:WORD_1
	v_fma_f16 v193, v34, v19, -v193
	v_mul_f16_sdwa v34, v34, v19 dst_sel:DWORD dst_unused:UNUSED_PAD src0_sel:DWORD src1_sel:WORD_1
	v_fma_f16 v194, v88, v61, -v194
	v_mul_f16_sdwa v88, v88, v61 dst_sel:DWORD dst_unused:UNUSED_PAD src0_sel:DWORD src1_sel:WORD_1
	v_fma_f16 v195, v78, v62, -v195
	v_mul_f16_sdwa v78, v78, v62 dst_sel:DWORD dst_unused:UNUSED_PAD src0_sel:DWORD src1_sel:WORD_1
	v_fma_f16 v34, v196, v19, v34
	v_fma_f16 v88, v197, v61, v88
	;; [unrolled: 1-line block ×3, first 2 shown]
	v_add_f16_e32 v78, v198, v40
	v_add_f16_e32 v196, v199, v36
	v_sub_f16_e32 v40, v198, v40
	v_add_f16_e32 v197, v200, v204
	v_add_f16_e32 v198, v28, v35
	v_sub_f16_e32 v36, v199, v36
	v_sub_f16_e32 v199, v200, v204
	;; [unrolled: 1-line block ×3, first 2 shown]
	v_add_f16_e32 v35, v201, v202
	v_add_f16_e32 v200, v42, v203
	v_sub_f16_e32 v201, v202, v201
	v_sub_f16_e32 v42, v203, v42
	v_add_f16_e32 v202, v197, v78
	v_add_f16_e32 v203, v198, v196
	v_sub_f16_e32 v204, v197, v78
	v_sub_f16_e32 v206, v198, v196
	;; [unrolled: 1-line block ×6, first 2 shown]
	v_add_f16_e32 v207, v201, v199
	v_add_f16_e32 v208, v42, v28
	v_sub_f16_e32 v209, v201, v199
	v_sub_f16_e32 v210, v42, v28
	v_sub_f16_e32 v199, v199, v40
	v_sub_f16_e32 v28, v28, v36
	v_add_f16_e32 v35, v35, v202
	v_add_f16_e32 v200, v200, v203
	v_sub_f16_e32 v201, v40, v201
	v_sub_f16_e32 v42, v36, v42
	v_add_f16_e32 v40, v207, v40
	v_add_f16_e32 v36, v208, v36
	;; [unrolled: 1-line block ×3, first 2 shown]
	v_add_f16_sdwa v26, v26, v200 dst_sel:DWORD dst_unused:UNUSED_PAD src0_sel:WORD_1 src1_sel:DWORD
	v_mul_f16_e32 v78, 0x3a52, v78
	v_mul_f16_e32 v196, 0x3a52, v196
	;; [unrolled: 1-line block ×8, first 2 shown]
	v_fma_f16 v35, v35, s12, v202
	v_fma_f16 v200, v200, s12, v26
	;; [unrolled: 1-line block ×4, first 2 shown]
	v_fma_f16 v203, v204, s13, -v203
	v_fma_f16 v207, v206, s13, -v207
	;; [unrolled: 1-line block ×4, first 2 shown]
	v_fma_f16 v204, v201, s18, v208
	v_fma_f16 v206, v42, s18, v209
	v_fma_f16 v199, v199, s2, -v208
	v_fma_f16 v28, v28, s2, -v209
	;; [unrolled: 1-line block ×4, first 2 shown]
	v_add_f16_e32 v197, v197, v35
	v_add_f16_e32 v198, v198, v200
	v_add_f16_e32 v203, v203, v35
	v_add_f16_e32 v207, v207, v200
	v_add_f16_e32 v35, v78, v35
	v_add_f16_e32 v78, v196, v200
	v_fma_f16 v196, v40, s16, v204
	v_fma_f16 v200, v36, s16, v206
	;; [unrolled: 1-line block ×6, first 2 shown]
	v_add_f16_e32 v42, v200, v197
	v_sub_f16_e32 v201, v198, v196
	v_add_f16_e32 v204, v36, v35
	v_sub_f16_e32 v206, v78, v40
	v_sub_f16_e32 v35, v35, v36
	v_add_f16_e32 v36, v40, v78
	v_sub_f16_e32 v40, v197, v200
	v_add_f16_e32 v78, v196, v198
	v_add_f16_e32 v196, v205, v91
	;; [unrolled: 1-line block ×3, first 2 shown]
	v_sub_f16_e32 v37, v46, v37
	v_add_f16_e32 v46, v89, v90
	v_add_f16_e32 v198, v29, v70
	v_sub_f16_e32 v91, v205, v91
	v_sub_f16_e32 v89, v89, v90
	;; [unrolled: 1-line block ×3, first 2 shown]
	v_add_f16_e32 v70, v31, v63
	v_add_f16_e32 v90, v32, v33
	v_sub_f16_e32 v31, v63, v31
	v_sub_f16_e32 v32, v33, v32
	v_add_f16_e32 v33, v46, v196
	v_add_f16_e32 v63, v198, v197
	v_sub_f16_e32 v208, v203, v28
	v_add_f16_e32 v209, v199, v207
	v_add_f16_e32 v28, v28, v203
	v_sub_f16_e32 v199, v207, v199
	v_sub_f16_e32 v200, v46, v196
	;; [unrolled: 1-line block ×7, first 2 shown]
	v_add_f16_e32 v205, v31, v89
	v_add_f16_e32 v207, v32, v29
	v_sub_f16_e32 v210, v31, v89
	v_sub_f16_e32 v211, v32, v29
	;; [unrolled: 1-line block ×4, first 2 shown]
	v_add_f16_e32 v33, v70, v33
	v_add_f16_e32 v63, v90, v63
	v_sub_f16_e32 v31, v91, v31
	v_sub_f16_e32 v32, v37, v32
	v_add_f16_e32 v70, v205, v91
	v_add_f16_e32 v37, v207, v37
	;; [unrolled: 1-line block ×3, first 2 shown]
	v_add_f16_sdwa v27, v27, v63 dst_sel:DWORD dst_unused:UNUSED_PAD src0_sel:WORD_1 src1_sel:DWORD
	v_mul_f16_e32 v91, 0x3a52, v196
	v_mul_f16_e32 v196, 0x3a52, v197
	;; [unrolled: 1-line block ×8, first 2 shown]
	v_fma_f16 v33, v33, s12, v90
	v_fma_f16 v63, v63, s12, v27
	;; [unrolled: 1-line block ×4, first 2 shown]
	v_fma_f16 v197, v200, s13, -v197
	v_fma_f16 v205, v203, s13, -v205
	;; [unrolled: 1-line block ×4, first 2 shown]
	v_fma_f16 v200, v31, s18, v207
	v_fma_f16 v203, v32, s18, v210
	v_fma_f16 v31, v31, s19, -v211
	v_fma_f16 v32, v32, s19, -v212
	;; [unrolled: 1-line block ×4, first 2 shown]
	v_add_f16_e32 v46, v46, v33
	v_add_f16_e32 v198, v198, v63
	v_add_f16_e32 v197, v197, v33
	v_add_f16_e32 v205, v205, v63
	v_add_f16_e32 v33, v91, v33
	v_add_f16_e32 v63, v196, v63
	v_fma_f16 v91, v70, s16, v200
	v_fma_f16 v196, v37, s16, v203
	;; [unrolled: 1-line block ×6, first 2 shown]
	v_add_f16_e32 v37, v196, v46
	v_sub_f16_e32 v70, v198, v91
	v_add_f16_e32 v200, v32, v33
	v_sub_f16_e32 v203, v63, v31
	v_sub_f16_e32 v32, v33, v32
	v_add_f16_e32 v31, v31, v63
	v_sub_f16_e32 v33, v46, v196
	v_add_f16_e32 v46, v91, v198
	v_add_f16_e32 v63, v92, v180
	;; [unrolled: 1-line block ×3, first 2 shown]
	v_sub_f16_e32 v92, v92, v180
	v_sub_f16_e32 v47, v47, v76
	v_add_f16_e32 v76, v93, v179
	v_add_f16_e32 v180, v72, v71
	v_sub_f16_e32 v93, v93, v179
	v_sub_f16_e32 v71, v72, v71
	v_add_f16_e32 v72, v94, v178
	v_add_f16_e32 v179, v64, v74
	;; [unrolled: 4-line block ×3, first 2 shown]
	v_sub_f16_e32 v207, v197, v29
	v_add_f16_e32 v210, v89, v205
	v_add_f16_e32 v29, v29, v197
	v_sub_f16_e32 v89, v205, v89
	v_sub_f16_e32 v196, v76, v63
	v_sub_f16_e32 v197, v180, v91
	v_sub_f16_e32 v63, v63, v72
	v_sub_f16_e32 v91, v91, v179
	v_sub_f16_e32 v76, v72, v76
	v_sub_f16_e32 v180, v179, v180
	v_add_f16_e32 v198, v94, v93
	v_add_f16_e32 v205, v64, v71
	v_sub_f16_e32 v211, v94, v93
	v_sub_f16_e32 v212, v64, v71
	;; [unrolled: 1-line block ×4, first 2 shown]
	v_add_f16_e32 v72, v72, v74
	v_add_f16_e32 v74, v179, v178
	v_sub_f16_e32 v94, v92, v94
	v_sub_f16_e32 v64, v47, v64
	v_add_f16_e32 v92, v198, v92
	v_add_f16_e32 v47, v205, v47
	;; [unrolled: 1-line block ×3, first 2 shown]
	v_add_f16_sdwa v20, v20, v74 dst_sel:DWORD dst_unused:UNUSED_PAD src0_sel:WORD_1 src1_sel:DWORD
	v_mul_f16_e32 v63, 0x3a52, v63
	v_mul_f16_e32 v91, 0x3a52, v91
	;; [unrolled: 1-line block ×8, first 2 shown]
	v_fma_f16 v72, v72, s12, v179
	v_fma_f16 v74, v74, s12, v20
	;; [unrolled: 1-line block ×4, first 2 shown]
	v_fma_f16 v178, v196, s13, -v178
	v_fma_f16 v198, v197, s13, -v198
	;; [unrolled: 1-line block ×4, first 2 shown]
	v_fma_f16 v196, v94, s18, v205
	v_fma_f16 v197, v64, s18, v211
	v_fma_f16 v93, v93, s2, -v205
	v_fma_f16 v71, v71, s2, -v211
	;; [unrolled: 1-line block ×4, first 2 shown]
	v_add_f16_e32 v76, v76, v72
	v_add_f16_e32 v180, v180, v74
	;; [unrolled: 1-line block ×6, first 2 shown]
	v_fma_f16 v74, v92, s16, v196
	v_fma_f16 v91, v47, s16, v197
	;; [unrolled: 1-line block ×6, first 2 shown]
	v_add_f16_e32 v64, v91, v76
	v_add_f16_e32 v196, v47, v63
	v_sub_f16_e32 v197, v72, v92
	v_sub_f16_e32 v205, v178, v71
	v_add_f16_e32 v71, v71, v178
	v_sub_f16_e32 v47, v63, v47
	v_add_f16_e32 v63, v92, v72
	;; [unrolled: 2-line block ×3, first 2 shown]
	v_add_f16_e32 v91, v83, v77
	v_sub_f16_e32 v77, v83, v77
	v_add_f16_e32 v83, v185, v188
	v_add_f16_e32 v178, v73, v87
	v_sub_f16_e32 v94, v180, v74
	v_add_f16_e32 v74, v74, v180
	v_sub_f16_e32 v92, v184, v189
	v_sub_f16_e32 v180, v185, v188
	;; [unrolled: 1-line block ×3, first 2 shown]
	v_add_f16_e32 v87, v186, v187
	v_add_f16_e32 v184, v85, v75
	v_sub_f16_e32 v185, v187, v186
	v_sub_f16_e32 v75, v75, v85
	v_add_f16_e32 v85, v83, v76
	v_add_f16_e32 v186, v178, v91
	;; [unrolled: 1-line block ×3, first 2 shown]
	v_sub_f16_e32 v93, v198, v93
	v_sub_f16_e32 v187, v83, v76
	;; [unrolled: 1-line block ×7, first 2 shown]
	v_add_f16_e32 v189, v185, v180
	v_add_f16_e32 v198, v75, v73
	v_sub_f16_e32 v212, v185, v180
	v_sub_f16_e32 v213, v75, v73
	;; [unrolled: 1-line block ×4, first 2 shown]
	v_add_f16_e32 v85, v87, v85
	v_add_f16_e32 v87, v184, v186
	v_sub_f16_e32 v185, v92, v185
	v_sub_f16_e32 v75, v77, v75
	v_add_f16_e32 v92, v189, v92
	v_add_f16_e32 v77, v198, v77
	;; [unrolled: 1-line block ×3, first 2 shown]
	v_add_f16_sdwa v21, v21, v87 dst_sel:DWORD dst_unused:UNUSED_PAD src0_sel:WORD_1 src1_sel:DWORD
	v_mul_f16_e32 v76, 0x3a52, v76
	v_mul_f16_e32 v91, 0x3a52, v91
	;; [unrolled: 1-line block ×8, first 2 shown]
	v_fma_f16 v85, v85, s12, v184
	v_fma_f16 v87, v87, s12, v21
	;; [unrolled: 1-line block ×4, first 2 shown]
	v_fma_f16 v186, v187, s13, -v186
	v_fma_f16 v189, v188, s13, -v189
	;; [unrolled: 1-line block ×4, first 2 shown]
	v_fma_f16 v187, v185, s18, v198
	v_fma_f16 v188, v75, s18, v212
	v_fma_f16 v180, v180, s2, -v198
	v_fma_f16 v185, v185, s19, -v213
	;; [unrolled: 1-line block ×4, first 2 shown]
	v_add_f16_e32 v83, v83, v85
	v_add_f16_e32 v178, v178, v87
	v_add_f16_e32 v186, v186, v85
	v_add_f16_e32 v189, v189, v87
	v_add_f16_e32 v76, v76, v85
	v_add_f16_e32 v85, v91, v87
	v_fma_f16 v87, v92, s16, v187
	v_fma_f16 v91, v77, s16, v188
	v_fma_f16 v180, v92, s16, v180
	v_fma_f16 v92, v92, s16, v185
	v_fma_f16 v75, v77, s16, v75
	v_fma_f16 v73, v77, s16, v73
	v_add_f16_e32 v77, v91, v83
	v_sub_f16_e32 v185, v178, v87
	v_add_f16_e32 v187, v75, v76
	v_sub_f16_e32 v188, v85, v92
	v_sub_f16_e32 v75, v76, v75
	v_add_f16_e32 v76, v92, v85
	v_sub_f16_e32 v83, v83, v91
	v_add_f16_e32 v85, v87, v178
	v_add_f16_e32 v87, v190, v195
	;; [unrolled: 1-line block ×3, first 2 shown]
	v_sub_f16_e32 v41, v84, v41
	v_add_f16_e32 v84, v191, v194
	v_add_f16_e32 v178, v30, v88
	v_pack_b32_f16 v26, v202, v26
	v_pack_b32_f16 v42, v42, v201
	v_sub_f16_e32 v198, v186, v73
	v_add_f16_e32 v212, v180, v189
	v_add_f16_e32 v73, v73, v186
	v_sub_f16_e32 v180, v189, v180
	v_sub_f16_e32 v92, v190, v195
	v_sub_f16_e32 v186, v191, v194
	v_sub_f16_e32 v30, v30, v88
	v_add_f16_e32 v88, v192, v193
	v_add_f16_e32 v189, v86, v34
	v_sub_f16_e32 v190, v193, v192
	v_sub_f16_e32 v34, v34, v86
	v_add_f16_e32 v86, v84, v87
	v_add_f16_e32 v191, v178, v91
	ds_write2_b32 v95, v26, v42 offset1:56
	v_pack_b32_f16 v26, v204, v206
	v_pack_b32_f16 v42, v208, v209
	v_sub_f16_e32 v192, v84, v87
	v_sub_f16_e32 v193, v178, v91
	;; [unrolled: 1-line block ×6, first 2 shown]
	v_add_f16_e32 v194, v190, v186
	v_add_f16_e32 v195, v34, v30
	v_sub_f16_e32 v213, v190, v186
	v_sub_f16_e32 v214, v34, v30
	;; [unrolled: 1-line block ×4, first 2 shown]
	v_add_f16_e32 v86, v88, v86
	v_add_f16_e32 v88, v189, v191
	ds_write2_b32 v95, v26, v42 offset0:112 offset1:168
	v_pack_b32_f16 v26, v28, v199
	v_pack_b32_f16 v28, v35, v36
	v_sub_f16_e32 v190, v92, v190
	v_sub_f16_e32 v34, v41, v34
	v_add_f16_e32 v92, v194, v92
	v_add_f16_e32 v41, v195, v41
	;; [unrolled: 1-line block ×3, first 2 shown]
	v_add_f16_sdwa v22, v22, v88 dst_sel:DWORD dst_unused:UNUSED_PAD src0_sel:WORD_1 src1_sel:DWORD
	v_mul_f16_e32 v87, 0x3a52, v87
	v_mul_f16_e32 v91, 0x3a52, v91
	;; [unrolled: 1-line block ×8, first 2 shown]
	ds_write2_b32 v66, v26, v28 offset0:96 offset1:152
	v_pack_b32_f16 v26, v40, v78
	v_pack_b32_f16 v27, v90, v27
	v_fma_f16 v86, v86, s12, v189
	v_fma_f16 v88, v88, s12, v22
	v_fma_f16 v84, v84, s3, v87
	v_fma_f16 v178, v178, s3, v91
	v_fma_f16 v191, v192, s13, -v191
	v_fma_f16 v194, v193, s13, -v194
	;; [unrolled: 1-line block ×4, first 2 shown]
	v_fma_f16 v192, v190, s18, v195
	v_fma_f16 v193, v34, s18, v213
	v_fma_f16 v186, v186, s2, -v195
	v_fma_f16 v190, v190, s19, -v214
	;; [unrolled: 1-line block ×3, first 2 shown]
	ds_write2_b32 v81, v26, v27 offset0:80 offset1:136
	v_pack_b32_f16 v26, v37, v70
	v_pack_b32_f16 v27, v200, v203
	v_add_f16_e32 v84, v84, v86
	v_add_f16_e32 v178, v178, v88
	;; [unrolled: 1-line block ×6, first 2 shown]
	v_fma_f16 v88, v92, s16, v192
	v_fma_f16 v186, v92, s16, v186
	;; [unrolled: 1-line block ×4, first 2 shown]
	ds_write2_b32 v81, v26, v27 offset0:192 offset1:248
	v_pack_b32_f16 v26, v207, v210
	v_pack_b32_f16 v27, v29, v89
	v_fma_f16 v91, v41, s16, v193
	v_sub_f16_e32 v190, v178, v88
	v_add_f16_e32 v192, v34, v86
	v_sub_f16_e32 v193, v87, v92
	v_sub_f16_e32 v34, v86, v34
	v_add_f16_e32 v86, v92, v87
	v_add_f16_e32 v87, v88, v178
	ds_write2_b32 v67, v26, v27 offset0:48 offset1:104
	v_pack_b32_f16 v26, v32, v31
	v_pack_b32_f16 v27, v33, v46
	v_lshlrev_b32_e32 v178, 2, v25
	ds_write2_b32 v67, v26, v27 offset0:160 offset1:216
	v_pack_b32_f16 v20, v179, v20
	v_pack_b32_f16 v25, v64, v94
	v_add_u32_e32 v26, 0xc00, v178
	ds_write2_b32 v26, v20, v25 offset0:16 offset1:72
	v_pack_b32_f16 v20, v196, v197
	v_pack_b32_f16 v25, v205, v211
	ds_write2_b32 v26, v20, v25 offset0:128 offset1:184
	v_pack_b32_f16 v20, v71, v93
	v_pack_b32_f16 v25, v47, v63
	v_add_u32_e32 v26, 0xe00, v178
	ds_write2_b32 v26, v20, v25 offset0:112 offset1:168
	v_pack_b32_f16 v20, v72, v74
	v_lshlrev_b32_e32 v179, 2, v24
	ds_write_b32 v178, v20 offset:4480
	v_pack_b32_f16 v20, v184, v21
	v_pack_b32_f16 v21, v77, v185
	v_add_u32_e32 v24, 0x1000, v179
	ds_write2_b32 v24, v20, v21 offset0:152 offset1:208
	v_pack_b32_f16 v20, v187, v188
	v_pack_b32_f16 v21, v198, v212
	v_add_u32_e32 v24, 0x1400, v179
	v_fma_f16 v30, v30, s2, -v213
	ds_write2_b32 v24, v20, v21 offset0:8 offset1:64
	v_pack_b32_f16 v20, v73, v180
	v_pack_b32_f16 v21, v75, v76
	v_fma_f16 v30, v41, s16, v30
	v_add_f16_e32 v41, v91, v84
	ds_write2_b32 v24, v20, v21 offset0:120 offset1:176
	v_pack_b32_f16 v20, v83, v85
	v_lshlrev_b32_e32 v180, 2, v23
	v_sub_f16_e32 v195, v191, v30
	v_add_f16_e32 v213, v186, v194
	ds_write_b32 v179, v20 offset:6048
	v_pack_b32_f16 v20, v189, v22
	v_pack_b32_f16 v21, v41, v190
	v_add_u32_e32 v22, 0x1800, v180
	v_add_f16_e32 v30, v30, v191
	v_sub_f16_e32 v186, v194, v186
	ds_write2_b32 v22, v20, v21 offset0:32 offset1:88
	v_pack_b32_f16 v20, v192, v193
	v_pack_b32_f16 v21, v195, v213
	v_sub_f16_e32 v84, v84, v91
	ds_write2_b32 v22, v20, v21 offset0:144 offset1:200
	v_pack_b32_f16 v20, v30, v186
	v_pack_b32_f16 v21, v34, v86
	v_add_u32_e32 v22, 0x1c00, v180
	ds_write2_b32 v22, v20, v21 offset1:56
	v_pack_b32_f16 v20, v84, v87
	ds_write_b32 v180, v20 offset:7616
	v_lshlrev_b32_e32 v20, 2, v38
	s_waitcnt lgkmcnt(0)
	; wave barrier
	s_waitcnt lgkmcnt(0)
	global_load_dwordx4 v[20:23], v20, s[4:5] offset:1552
	v_lshlrev_b32_e32 v24, 2, v39
	global_load_dwordx4 v[24:27], v24, s[4:5] offset:1552
	v_mov_b32_e32 v28, s15
	v_add_co_u32_e64 v70, s[2:3], s14, v38
	v_addc_co_u32_e64 v71, s[2:3], 0, v28, s[2:3]
	v_lshlrev_b32_e32 v28, 2, v45
	ds_read2_b32 v[73:74], v95 offset1:56
	ds_read2_b32 v[63:64], v81 offset0:80 offset1:136
	ds_read2_b32 v[75:76], v65 offset0:16 offset1:72
	;; [unrolled: 1-line block ×6, first 2 shown]
	global_load_dwordx4 v[28:31], v28, s[4:5] offset:1552
	v_lshlrev_b32_e32 v32, 2, v44
	global_load_dwordx4 v[32:35], v32, s[4:5] offset:1552
	ds_read2_b32 v[89:90], v95 offset0:112 offset1:168
	ds_read2_b32 v[91:92], v65 offset0:128 offset1:184
	;; [unrolled: 1-line block ×7, first 2 shown]
	ds_read2_b32 v[192:193], v183 offset1:56
	ds_read2_b32 v[194:195], v67 offset0:160 offset1:216
	ds_read2_b32 v[196:197], v79 offset0:176 offset1:232
	global_load_dwordx4 v[36:39], v132, s[4:5] offset:1552
	s_waitcnt lgkmcnt(14)
	v_lshrrev_b32_e32 v46, 16, v64
	v_lshrrev_b32_e32 v47, 16, v75
	s_waitcnt lgkmcnt(13)
	v_lshrrev_b32_e32 v199, 16, v78
	s_waitcnt lgkmcnt(12)
	;; [unrolled: 2-line block ×3, first 2 shown]
	v_lshrrev_b32_e32 v202, 16, v85
	v_lshrrev_b32_e32 v203, 16, v76
	s_waitcnt lgkmcnt(10)
	v_lshrrev_b32_e32 v204, 16, v87
	v_lshrrev_b32_e32 v205, 16, v84
	;; [unrolled: 1-line block ×3, first 2 shown]
	s_waitcnt lgkmcnt(8)
	v_lshrrev_b32_e32 v208, 16, v91
	v_lshrrev_b32_e32 v209, 16, v88
	s_waitcnt lgkmcnt(7)
	v_lshrrev_b32_e32 v210, 16, v93
	s_waitcnt lgkmcnt(6)
	v_lshrrev_b32_e32 v212, 16, v184
	v_lshrrev_b32_e32 v213, 16, v92
	s_waitcnt lgkmcnt(5)
	v_lshrrev_b32_e32 v214, 16, v186
	v_lshrrev_b32_e32 v215, 16, v94
	;; [unrolled: 1-line block ×3, first 2 shown]
	s_waitcnt lgkmcnt(3)
	v_lshrrev_b32_e32 v218, 16, v190
	v_lshrrev_b32_e32 v219, 16, v187
	s_waitcnt lgkmcnt(2)
	v_lshrrev_b32_e32 v220, 16, v192
	s_waitcnt lgkmcnt(1)
	v_lshrrev_b32_e32 v222, 16, v194
	v_lshrrev_b32_e32 v223, 16, v191
	s_waitcnt lgkmcnt(0)
	v_lshrrev_b32_e32 v224, 16, v196
	v_lshrrev_b32_e32 v225, 16, v193
	;; [unrolled: 1-line block ×3, first 2 shown]
	ds_read_b32 v226, v95 offset:7616
	v_lshrrev_b32_e32 v228, 16, v77
	v_lshrrev_b32_e32 v229, 16, v197
	s_movk_i32 s3, 0x3b9c
	s_movk_i32 s2, 0x38b4
	s_waitcnt lgkmcnt(0)
	v_lshrrev_b32_e32 v230, 16, v226
	s_mov_b32 s13, 0xb8b4
	v_lshrrev_b32_e32 v198, 16, v73
	v_lshrrev_b32_e32 v201, 16, v74
	v_lshrrev_b32_e32 v206, 16, v89
	v_lshrrev_b32_e32 v211, 16, v90
	v_lshrrev_b32_e32 v216, 16, v188
	v_lshrrev_b32_e32 v221, 16, v189
	v_lshrrev_b32_e32 v72, 16, v63
	s_movk_i32 s12, 0x1000
	s_waitcnt vmcnt(4)
	v_mul_f16_sdwa v40, v46, v20 dst_sel:DWORD dst_unused:UNUSED_PAD src0_sel:DWORD src1_sel:WORD_1
	v_fma_f16 v231, v64, v20, -v40
	v_lshlrev_b32_e32 v40, 2, v43
	global_load_dwordx4 v[40:43], v40, s[4:5] offset:1552
	v_mul_f16_sdwa v44, v64, v20 dst_sel:DWORD dst_unused:UNUSED_PAD src0_sel:DWORD src1_sel:WORD_1
	v_fma_f16 v64, v46, v20, v44
	v_mul_f16_sdwa v44, v47, v21 dst_sel:DWORD dst_unused:UNUSED_PAD src0_sel:DWORD src1_sel:WORD_1
	v_fma_f16 v232, v75, v21, -v44
	v_mul_f16_sdwa v44, v75, v21 dst_sel:DWORD dst_unused:UNUSED_PAD src0_sel:DWORD src1_sel:WORD_1
	v_fma_f16 v75, v47, v21, v44
	v_mul_f16_sdwa v44, v199, v22 dst_sel:DWORD dst_unused:UNUSED_PAD src0_sel:DWORD src1_sel:WORD_1
	v_fma_f16 v233, v78, v22, -v44
	;; [unrolled: 4-line block ×3, first 2 shown]
	v_mul_f16_sdwa v44, v83, v23 dst_sel:DWORD dst_unused:UNUSED_PAD src0_sel:DWORD src1_sel:WORD_1
	v_fma_f16 v83, v200, v23, v44
	global_load_dwordx4 v[44:47], v134, s[4:5] offset:1552
	s_waitcnt vmcnt(5)
	v_mul_f16_sdwa v200, v202, v24 dst_sel:DWORD dst_unused:UNUSED_PAD src0_sel:DWORD src1_sel:WORD_1
	v_fma_f16 v200, v85, v24, -v200
	v_mul_f16_sdwa v85, v85, v24 dst_sel:DWORD dst_unused:UNUSED_PAD src0_sel:DWORD src1_sel:WORD_1
	v_fma_f16 v85, v202, v24, v85
	v_mul_f16_sdwa v202, v203, v25 dst_sel:DWORD dst_unused:UNUSED_PAD src0_sel:DWORD src1_sel:WORD_1
	v_fma_f16 v202, v76, v25, -v202
	v_mul_f16_sdwa v76, v76, v25 dst_sel:DWORD dst_unused:UNUSED_PAD src0_sel:DWORD src1_sel:WORD_1
	v_fma_f16 v76, v203, v25, v76
	v_mul_f16_sdwa v203, v204, v26 dst_sel:DWORD dst_unused:UNUSED_PAD src0_sel:DWORD src1_sel:WORD_1
	v_fma_f16 v203, v87, v26, -v203
	v_mul_f16_sdwa v87, v87, v26 dst_sel:DWORD dst_unused:UNUSED_PAD src0_sel:DWORD src1_sel:WORD_1
	v_fma_f16 v87, v204, v26, v87
	v_mul_f16_sdwa v204, v205, v27 dst_sel:DWORD dst_unused:UNUSED_PAD src0_sel:DWORD src1_sel:WORD_1
	v_fma_f16 v204, v84, v27, -v204
	v_mul_f16_sdwa v84, v84, v27 dst_sel:DWORD dst_unused:UNUSED_PAD src0_sel:DWORD src1_sel:WORD_1
	v_fma_f16 v84, v205, v27, v84
	s_waitcnt vmcnt(4)
	v_mul_f16_sdwa v205, v207, v28 dst_sel:DWORD dst_unused:UNUSED_PAD src0_sel:DWORD src1_sel:WORD_1
	v_fma_f16 v205, v86, v28, -v205
	v_mul_f16_sdwa v86, v86, v28 dst_sel:DWORD dst_unused:UNUSED_PAD src0_sel:DWORD src1_sel:WORD_1
	v_fma_f16 v86, v207, v28, v86
	v_mul_f16_sdwa v207, v208, v29 dst_sel:DWORD dst_unused:UNUSED_PAD src0_sel:DWORD src1_sel:WORD_1
	v_fma_f16 v207, v91, v29, -v207
	v_mul_f16_sdwa v91, v91, v29 dst_sel:DWORD dst_unused:UNUSED_PAD src0_sel:DWORD src1_sel:WORD_1
	v_fma_f16 v91, v208, v29, v91
	v_mul_f16_sdwa v208, v209, v30 dst_sel:DWORD dst_unused:UNUSED_PAD src0_sel:DWORD src1_sel:WORD_1
	v_fma_f16 v208, v88, v30, -v208
	v_mul_f16_sdwa v88, v88, v30 dst_sel:DWORD dst_unused:UNUSED_PAD src0_sel:DWORD src1_sel:WORD_1
	v_fma_f16 v88, v209, v30, v88
	v_mul_f16_sdwa v209, v210, v31 dst_sel:DWORD dst_unused:UNUSED_PAD src0_sel:DWORD src1_sel:WORD_1
	v_fma_f16 v209, v93, v31, -v209
	v_mul_f16_sdwa v93, v93, v31 dst_sel:DWORD dst_unused:UNUSED_PAD src0_sel:DWORD src1_sel:WORD_1
	v_fma_f16 v93, v210, v31, v93
	;; [unrolled: 17-line block ×5, first 2 shown]
	s_waitcnt vmcnt(0)
	v_mul_f16_sdwa v225, v227, v44 dst_sel:DWORD dst_unused:UNUSED_PAD src0_sel:DWORD src1_sel:WORD_1
	v_fma_f16 v225, v195, v44, -v225
	v_mul_f16_sdwa v195, v195, v44 dst_sel:DWORD dst_unused:UNUSED_PAD src0_sel:DWORD src1_sel:WORD_1
	v_fma_f16 v195, v227, v44, v195
	v_mul_f16_sdwa v227, v228, v45 dst_sel:DWORD dst_unused:UNUSED_PAD src0_sel:DWORD src1_sel:WORD_1
	v_fma_f16 v227, v77, v45, -v227
	v_mul_f16_sdwa v77, v77, v45 dst_sel:DWORD dst_unused:UNUSED_PAD src0_sel:DWORD src1_sel:WORD_1
	v_fma_f16 v77, v228, v45, v77
	v_mul_f16_sdwa v228, v229, v46 dst_sel:DWORD dst_unused:UNUSED_PAD src0_sel:DWORD src1_sel:WORD_1
	v_add_f16_e32 v234, v232, v233
	v_fma_f16 v228, v197, v46, -v228
	v_mul_f16_sdwa v197, v197, v46 dst_sel:DWORD dst_unused:UNUSED_PAD src0_sel:DWORD src1_sel:WORD_1
	v_fma_f16 v234, v234, -0.5, v73
	v_sub_f16_e32 v235, v64, v83
	s_mov_b32 s5, 0xbb9c
	v_fma_f16 v197, v229, v46, v197
	v_mul_f16_sdwa v229, v230, v47 dst_sel:DWORD dst_unused:UNUSED_PAD src0_sel:DWORD src1_sel:WORD_1
	v_fma_f16 v236, v235, s3, v234
	v_sub_f16_e32 v237, v75, v78
	v_sub_f16_e32 v238, v231, v232
	;; [unrolled: 1-line block ×3, first 2 shown]
	v_fma_f16 v234, v235, s5, v234
	v_fma_f16 v229, v226, v47, -v229
	v_mul_f16_sdwa v226, v226, v47 dst_sel:DWORD dst_unused:UNUSED_PAD src0_sel:DWORD src1_sel:WORD_1
	v_fma_f16 v236, v237, s2, v236
	v_add_f16_e32 v238, v238, v239
	s_movk_i32 s4, 0x34f2
	v_fma_f16 v234, v237, s13, v234
	v_fma_f16 v226, v230, v47, v226
	v_add_f16_e32 v230, v73, v231
	v_fma_f16 v236, v238, s4, v236
	v_fma_f16 v234, v238, s4, v234
	v_add_f16_e32 v238, v231, v199
	v_add_f16_e32 v230, v230, v232
	v_fma_f16 v73, v238, -0.5, v73
	v_add_f16_e32 v230, v230, v233
	v_fma_f16 v238, v237, s5, v73
	v_sub_f16_e32 v239, v232, v231
	v_sub_f16_e32 v240, v233, v199
	v_fma_f16 v73, v237, s3, v73
	v_add_f16_e32 v237, v75, v78
	v_add_f16_e32 v230, v230, v199
	v_fma_f16 v238, v235, s2, v238
	v_add_f16_e32 v239, v239, v240
	v_fma_f16 v73, v235, s13, v73
	v_fma_f16 v237, v237, -0.5, v198
	v_sub_f16_e32 v199, v231, v199
	v_fma_f16 v238, v239, s4, v238
	v_fma_f16 v73, v239, s4, v73
	;; [unrolled: 1-line block ×3, first 2 shown]
	v_sub_f16_e32 v232, v232, v233
	v_sub_f16_e32 v233, v64, v75
	;; [unrolled: 1-line block ×3, first 2 shown]
	v_fma_f16 v237, v199, s3, v237
	v_add_f16_e32 v235, v198, v64
	v_fma_f16 v231, v232, s13, v231
	v_add_f16_e32 v233, v233, v239
	;; [unrolled: 2-line block ×3, first 2 shown]
	v_fma_f16 v231, v233, s4, v231
	v_fma_f16 v233, v233, s4, v237
	v_add_f16_e32 v237, v64, v83
	v_add_f16_e32 v235, v235, v78
	v_fma_f16 v198, v237, -0.5, v198
	v_add_f16_e32 v235, v235, v83
	v_fma_f16 v237, v232, s3, v198
	v_sub_f16_e32 v64, v75, v64
	v_sub_f16_e32 v75, v78, v83
	v_add_f16_e32 v83, v202, v203
	v_fma_f16 v237, v199, s13, v237
	v_add_f16_e32 v64, v64, v75
	v_fma_f16 v78, v232, s5, v198
	v_fma_f16 v83, v83, -0.5, v74
	v_sub_f16_e32 v198, v85, v84
	v_fma_f16 v75, v64, s4, v237
	v_fma_f16 v78, v199, s2, v78
	;; [unrolled: 1-line block ×3, first 2 shown]
	v_sub_f16_e32 v232, v76, v87
	v_sub_f16_e32 v237, v200, v202
	;; [unrolled: 1-line block ×3, first 2 shown]
	v_fma_f16 v83, v198, s5, v83
	v_fma_f16 v199, v232, s2, v199
	v_add_f16_e32 v237, v237, v239
	v_fma_f16 v83, v232, s13, v83
	v_fma_f16 v199, v237, s4, v199
	;; [unrolled: 1-line block ×3, first 2 shown]
	v_add_f16_e32 v237, v200, v204
	v_fma_f16 v64, v64, s4, v78
	v_add_f16_e32 v78, v74, v200
	v_fma_f16 v74, v237, -0.5, v74
	v_add_f16_e32 v78, v78, v202
	v_fma_f16 v237, v232, s5, v74
	v_fma_f16 v74, v232, s3, v74
	v_add_f16_e32 v232, v76, v87
	v_add_f16_e32 v78, v78, v203
	v_sub_f16_e32 v239, v202, v200
	v_sub_f16_e32 v240, v203, v204
	v_fma_f16 v232, v232, -0.5, v201
	v_sub_f16_e32 v200, v200, v204
	v_add_f16_e32 v78, v78, v204
	v_fma_f16 v237, v198, s2, v237
	v_add_f16_e32 v239, v239, v240
	v_fma_f16 v74, v198, s13, v74
	v_fma_f16 v204, v200, s5, v232
	v_sub_f16_e32 v202, v202, v203
	v_fma_f16 v237, v239, s4, v237
	v_fma_f16 v74, v239, s4, v74
	;; [unrolled: 1-line block ×3, first 2 shown]
	v_sub_f16_e32 v204, v85, v76
	v_sub_f16_e32 v239, v84, v87
	v_fma_f16 v232, v200, s3, v232
	v_add_f16_e32 v198, v201, v85
	v_add_f16_e32 v204, v204, v239
	v_fma_f16 v232, v202, s2, v232
	v_add_f16_e32 v198, v198, v76
	v_fma_f16 v203, v204, s4, v203
	v_fma_f16 v204, v204, s4, v232
	v_add_f16_e32 v232, v85, v84
	v_add_f16_e32 v198, v198, v87
	v_fma_f16 v201, v232, -0.5, v201
	v_add_f16_e32 v198, v198, v84
	v_fma_f16 v232, v202, s3, v201
	v_sub_f16_e32 v76, v76, v85
	v_sub_f16_e32 v84, v87, v84
	v_fma_f16 v85, v202, s5, v201
	v_add_f16_e32 v87, v207, v208
	v_fma_f16 v232, v200, s13, v232
	v_add_f16_e32 v76, v76, v84
	v_fma_f16 v85, v200, s2, v85
	v_fma_f16 v87, v87, -0.5, v89
	v_sub_f16_e32 v200, v86, v93
	v_fma_f16 v84, v76, s4, v232
	v_fma_f16 v201, v200, s3, v87
	v_sub_f16_e32 v202, v91, v88
	v_sub_f16_e32 v232, v205, v207
	;; [unrolled: 1-line block ×3, first 2 shown]
	v_fma_f16 v87, v200, s5, v87
	v_fma_f16 v201, v202, s2, v201
	v_add_f16_e32 v232, v232, v239
	v_fma_f16 v87, v202, s13, v87
	v_fma_f16 v201, v232, s4, v201
	v_fma_f16 v87, v232, s4, v87
	v_add_f16_e32 v232, v205, v209
	v_fma_f16 v76, v76, s4, v85
	v_add_f16_e32 v85, v89, v205
	v_fma_f16 v89, v232, -0.5, v89
	v_add_f16_e32 v85, v85, v207
	v_fma_f16 v232, v202, s5, v89
	v_fma_f16 v89, v202, s3, v89
	v_add_f16_e32 v202, v91, v88
	v_add_f16_e32 v85, v85, v208
	v_sub_f16_e32 v239, v207, v205
	v_sub_f16_e32 v240, v208, v209
	v_fma_f16 v202, v202, -0.5, v206
	v_sub_f16_e32 v205, v205, v209
	v_add_f16_e32 v85, v85, v209
	v_fma_f16 v232, v200, s2, v232
	v_add_f16_e32 v239, v239, v240
	v_fma_f16 v89, v200, s13, v89
	v_fma_f16 v209, v205, s5, v202
	v_sub_f16_e32 v207, v207, v208
	v_fma_f16 v232, v239, s4, v232
	v_fma_f16 v89, v239, s4, v89
	;; [unrolled: 1-line block ×3, first 2 shown]
	v_sub_f16_e32 v209, v86, v91
	v_sub_f16_e32 v239, v93, v88
	v_fma_f16 v202, v205, s3, v202
	v_add_f16_e32 v200, v206, v86
	v_add_f16_e32 v209, v209, v239
	v_fma_f16 v202, v207, s2, v202
	v_add_f16_e32 v200, v200, v91
	v_fma_f16 v208, v209, s4, v208
	v_fma_f16 v202, v209, s4, v202
	v_add_f16_e32 v209, v86, v93
	v_add_f16_e32 v200, v200, v88
	v_fma_f16 v206, v209, -0.5, v206
	v_add_f16_e32 v200, v200, v93
	v_fma_f16 v209, v207, s3, v206
	v_sub_f16_e32 v86, v91, v86
	v_sub_f16_e32 v88, v88, v93
	v_fma_f16 v91, v207, s5, v206
	v_add_f16_e32 v93, v212, v213
	v_fma_f16 v209, v205, s13, v209
	v_add_f16_e32 v86, v86, v88
	v_fma_f16 v91, v205, s2, v91
	v_fma_f16 v93, v93, -0.5, v90
	v_sub_f16_e32 v205, v184, v94
	v_fma_f16 v88, v86, s4, v209
	v_fma_f16 v206, v205, s3, v93
	v_sub_f16_e32 v207, v92, v186
	v_sub_f16_e32 v209, v210, v212
	;; [unrolled: 1-line block ×3, first 2 shown]
	v_fma_f16 v93, v205, s5, v93
	v_fma_f16 v206, v207, s2, v206
	v_add_f16_e32 v209, v209, v239
	v_fma_f16 v93, v207, s13, v93
	v_fma_f16 v206, v209, s4, v206
	;; [unrolled: 1-line block ×3, first 2 shown]
	v_add_f16_e32 v209, v210, v214
	v_fma_f16 v86, v86, s4, v91
	v_add_f16_e32 v91, v90, v210
	v_fma_f16 v90, v209, -0.5, v90
	v_add_f16_e32 v91, v91, v212
	v_fma_f16 v209, v207, s5, v90
	v_fma_f16 v90, v207, s3, v90
	v_add_f16_e32 v207, v92, v186
	v_add_f16_e32 v91, v91, v213
	v_sub_f16_e32 v239, v212, v210
	v_sub_f16_e32 v240, v213, v214
	v_fma_f16 v207, v207, -0.5, v211
	v_sub_f16_e32 v210, v210, v214
	v_add_f16_e32 v91, v91, v214
	v_fma_f16 v209, v205, s2, v209
	v_add_f16_e32 v239, v239, v240
	v_fma_f16 v90, v205, s13, v90
	v_fma_f16 v214, v210, s5, v207
	v_sub_f16_e32 v212, v212, v213
	v_fma_f16 v209, v239, s4, v209
	v_fma_f16 v90, v239, s4, v90
	;; [unrolled: 1-line block ×3, first 2 shown]
	v_sub_f16_e32 v214, v184, v92
	v_sub_f16_e32 v239, v94, v186
	v_fma_f16 v207, v210, s3, v207
	v_add_f16_e32 v205, v211, v184
	v_add_f16_e32 v214, v214, v239
	v_fma_f16 v207, v212, s2, v207
	v_add_f16_e32 v205, v205, v92
	v_fma_f16 v213, v214, s4, v213
	v_fma_f16 v207, v214, s4, v207
	v_add_f16_e32 v214, v184, v94
	v_add_f16_e32 v205, v205, v186
	v_fma_f16 v211, v214, -0.5, v211
	v_add_f16_e32 v205, v205, v94
	v_fma_f16 v214, v212, s3, v211
	v_sub_f16_e32 v92, v92, v184
	v_sub_f16_e32 v94, v186, v94
	v_fma_f16 v184, v212, s5, v211
	v_fma_f16 v214, v210, s13, v214
	v_add_f16_e32 v92, v92, v94
	v_fma_f16 v184, v210, s2, v184
	v_fma_f16 v94, v92, s4, v214
	;; [unrolled: 1-line block ×3, first 2 shown]
	v_add_f16_e32 v184, v188, v215
	v_add_f16_e32 v184, v184, v217
	;; [unrolled: 1-line block ×5, first 2 shown]
	v_fma_f16 v184, v184, -0.5, v188
	v_sub_f16_e32 v186, v185, v192
	v_fma_f16 v211, v186, s3, v184
	v_sub_f16_e32 v212, v190, v187
	v_sub_f16_e32 v214, v215, v217
	;; [unrolled: 1-line block ×3, first 2 shown]
	v_fma_f16 v184, v186, s5, v184
	v_fma_f16 v211, v212, s2, v211
	v_add_f16_e32 v214, v214, v239
	v_fma_f16 v184, v212, s13, v184
	v_fma_f16 v211, v214, s4, v211
	;; [unrolled: 1-line block ×3, first 2 shown]
	v_add_f16_e32 v184, v215, v219
	v_fma_f16 v184, v184, -0.5, v188
	v_fma_f16 v188, v212, s5, v184
	v_sub_f16_e32 v239, v217, v215
	v_sub_f16_e32 v240, v218, v219
	v_fma_f16 v184, v212, s3, v184
	v_add_f16_e32 v239, v239, v240
	v_fma_f16 v184, v186, s13, v184
	v_fma_f16 v212, v239, s4, v184
	v_add_f16_e32 v184, v216, v185
	v_add_f16_e32 v184, v184, v190
	v_fma_f16 v188, v186, s2, v188
	v_add_f16_e32 v184, v184, v187
	v_fma_f16 v240, v239, s4, v188
	v_add_f16_e32 v239, v184, v192
	v_add_f16_e32 v184, v190, v187
	v_fma_f16 v184, v184, -0.5, v216
	v_sub_f16_e32 v186, v215, v219
	v_fma_f16 v188, v186, s5, v184
	v_sub_f16_e32 v215, v217, v218
	v_sub_f16_e32 v217, v185, v190
	v_sub_f16_e32 v218, v192, v187
	v_fma_f16 v184, v186, s3, v184
	v_fma_f16 v188, v215, s13, v188
	v_add_f16_e32 v217, v217, v218
	v_fma_f16 v184, v215, s2, v184
	v_fma_f16 v218, v217, s4, v188
	;; [unrolled: 1-line block ×3, first 2 shown]
	v_add_f16_e32 v184, v185, v192
	v_fma_f16 v184, v184, -0.5, v216
	v_fma_f16 v188, v215, s3, v184
	v_sub_f16_e32 v185, v190, v185
	v_sub_f16_e32 v187, v187, v192
	v_fma_f16 v184, v215, s5, v184
	v_add_f16_e32 v185, v185, v187
	v_fma_f16 v184, v186, s2, v184
	v_fma_f16 v192, v185, s4, v184
	v_add_f16_e32 v184, v189, v220
	v_add_f16_e32 v184, v184, v222
	;; [unrolled: 1-line block ×3, first 2 shown]
	v_fma_f16 v188, v186, s13, v188
	v_add_f16_e32 v215, v184, v224
	v_add_f16_e32 v184, v222, v223
	v_fma_f16 v190, v185, s4, v188
	v_fma_f16 v184, v184, -0.5, v189
	v_sub_f16_e32 v185, v194, v193
	v_fma_f16 v186, v185, s3, v184
	v_sub_f16_e32 v187, v191, v196
	v_sub_f16_e32 v188, v220, v222
	;; [unrolled: 1-line block ×3, first 2 shown]
	v_fma_f16 v184, v185, s5, v184
	v_add_f16_e32 v188, v188, v216
	v_fma_f16 v184, v187, s13, v184
	v_fma_f16 v219, v188, s4, v184
	v_add_f16_e32 v184, v220, v224
	v_fma_f16 v186, v187, s2, v186
	v_fma_f16 v184, v184, -0.5, v189
	v_fma_f16 v216, v188, s4, v186
	v_fma_f16 v186, v187, s5, v184
	v_sub_f16_e32 v188, v222, v220
	v_sub_f16_e32 v189, v223, v224
	v_fma_f16 v184, v187, s3, v184
	v_add_f16_e32 v188, v188, v189
	v_fma_f16 v184, v185, s13, v184
	v_fma_f16 v242, v188, s4, v184
	v_add_f16_e32 v184, v221, v194
	v_add_f16_e32 v184, v184, v191
	;; [unrolled: 1-line block ×5, first 2 shown]
	v_fma_f16 v186, v185, s2, v186
	v_fma_f16 v184, v184, -0.5, v221
	v_sub_f16_e32 v185, v220, v224
	v_fma_f16 v241, v188, s4, v186
	v_fma_f16 v186, v185, s5, v184
	v_sub_f16_e32 v187, v222, v223
	v_sub_f16_e32 v188, v194, v191
	;; [unrolled: 1-line block ×3, first 2 shown]
	v_fma_f16 v184, v185, s3, v184
	v_add_f16_e32 v188, v188, v189
	v_fma_f16 v184, v187, s2, v184
	v_fma_f16 v222, v188, s4, v184
	v_add_f16_e32 v184, v194, v193
	v_fma_f16 v186, v187, s13, v186
	v_fma_f16 v184, v184, -0.5, v221
	v_fma_f16 v220, v188, s4, v186
	v_fma_f16 v186, v187, s3, v184
	v_sub_f16_e32 v188, v191, v194
	v_sub_f16_e32 v189, v196, v193
	v_fma_f16 v184, v187, s5, v184
	v_add_f16_e32 v188, v188, v189
	v_fma_f16 v184, v185, s2, v184
	v_fma_f16 v193, v188, s4, v184
	v_add_f16_e32 v184, v63, v225
	v_add_f16_e32 v184, v184, v227
	;; [unrolled: 1-line block ×5, first 2 shown]
	v_fma_f16 v186, v185, s13, v186
	v_fma_f16 v184, v184, -0.5, v63
	v_sub_f16_e32 v185, v195, v226
	v_fma_f16 v191, v188, s4, v186
	v_fma_f16 v186, v185, s3, v184
	v_sub_f16_e32 v187, v77, v197
	v_sub_f16_e32 v188, v225, v227
	v_sub_f16_e32 v189, v229, v228
	v_fma_f16 v184, v185, s5, v184
	v_fma_f16 v186, v187, s2, v186
	v_add_f16_e32 v188, v188, v189
	v_fma_f16 v184, v187, s13, v184
	v_fma_f16 v196, v188, s4, v186
	;; [unrolled: 1-line block ×3, first 2 shown]
	v_add_f16_e32 v184, v225, v229
	v_fma_f16 v63, v184, -0.5, v63
	v_fma_f16 v184, v187, s5, v63
	v_sub_f16_e32 v186, v227, v225
	v_sub_f16_e32 v189, v228, v229
	v_fma_f16 v63, v187, s3, v63
	v_fma_f16 v184, v185, s2, v184
	v_add_f16_e32 v186, v186, v189
	v_fma_f16 v63, v185, s13, v63
	v_fma_f16 v184, v186, s4, v184
	;; [unrolled: 1-line block ×3, first 2 shown]
	v_add_f16_e32 v186, v77, v197
	v_fma_f16 v186, v186, -0.5, v72
	v_sub_f16_e32 v187, v225, v229
	v_fma_f16 v189, v187, s5, v186
	v_sub_f16_e32 v221, v227, v228
	v_sub_f16_e32 v223, v195, v77
	;; [unrolled: 1-line block ×3, first 2 shown]
	v_fma_f16 v186, v187, s3, v186
	v_fma_f16 v189, v221, s13, v189
	v_add_f16_e32 v223, v223, v224
	v_fma_f16 v186, v221, s2, v186
	v_fma_f16 v224, v223, s4, v189
	;; [unrolled: 1-line block ×3, first 2 shown]
	v_add_f16_e32 v186, v195, v226
	v_add_f16_e32 v63, v72, v195
	v_fma_f16 v72, v186, -0.5, v72
	v_add_f16_e32 v63, v63, v77
	v_fma_f16 v186, v221, s3, v72
	v_sub_f16_e32 v77, v77, v195
	v_sub_f16_e32 v195, v197, v226
	v_fma_f16 v72, v221, s5, v72
	v_pack_b32_f16 v64, v73, v64
	v_fma_f16 v186, v187, s13, v186
	v_add_f16_e32 v77, v77, v195
	v_fma_f16 v72, v187, s2, v72
	ds_write_b32 v95, v64 offset:4704
	v_pack_b32_f16 v64, v234, v233
	v_fma_f16 v186, v77, s4, v186
	v_fma_f16 v187, v77, s4, v72
	v_pack_b32_f16 v72, v230, v235
	v_pack_b32_f16 v77, v236, v231
	;; [unrolled: 1-line block ×3, first 2 shown]
	ds_write_b32 v95, v64 offset:6272
	v_pack_b32_f16 v64, v78, v198
	ds_write_b32 v95, v77 offset:1568
	ds_write_b32 v95, v75 offset:3136
	ds_write2_b32 v95, v72, v64 offset1:56
	v_pack_b32_f16 v72, v237, v84
	ds_write_b32 v95, v72 offset:3360
	v_pack_b32_f16 v72, v74, v76
	v_pack_b32_f16 v64, v199, v203
	ds_write_b32 v95, v72 offset:4928
	v_pack_b32_f16 v72, v83, v204
	v_pack_b32_f16 v73, v201, v208
	ds_write_b32 v95, v72 offset:6496
	ds_write2_b32 v81, v64, v73 offset0:192 offset1:248
	v_pack_b32_f16 v73, v89, v86
	ds_write_b32 v95, v73 offset:5152
	v_pack_b32_f16 v73, v87, v202
	v_pack_b32_f16 v72, v85, v200
	ds_write_b32 v95, v73 offset:6720
	v_pack_b32_f16 v73, v91, v205
	v_pack_b32_f16 v64, v232, v88
	ds_write2_b32 v95, v72, v73 offset0:112 offset1:168
	v_pack_b32_f16 v73, v209, v94
	ds_write2_b32 v65, v64, v73 offset0:128 offset1:184
	v_pack_b32_f16 v64, v90, v92
	v_pack_b32_f16 v72, v206, v213
	ds_write_b32 v95, v64 offset:5376
	v_pack_b32_f16 v64, v93, v207
	v_pack_b32_f16 v73, v211, v218
	ds_write_b32 v95, v64 offset:6944
	ds_write2_b32 v67, v72, v73 offset0:48 offset1:104
	v_pack_b32_f16 v73, v212, v192
	ds_write_b32 v95, v73 offset:5600
	v_pack_b32_f16 v73, v214, v217
	v_add_f16_e32 v63, v63, v197
	v_pack_b32_f16 v64, v210, v239
	ds_write_b32 v95, v73 offset:7168
	v_pack_b32_f16 v73, v215, v243
	v_add_f16_e32 v63, v63, v226
	v_pack_b32_f16 v72, v240, v190
	ds_write2_b32 v66, v64, v73 offset0:96 offset1:152
	v_pack_b32_f16 v73, v241, v191
	ds_write2_b32 v68, v72, v73 offset0:112 offset1:168
	v_pack_b32_f16 v72, v242, v193
	v_pack_b32_f16 v63, v194, v63
	;; [unrolled: 1-line block ×3, first 2 shown]
	ds_write_b32 v95, v72 offset:5824
	v_pack_b32_f16 v72, v219, v222
	ds_write_b32 v95, v63 offset:1344
	v_pack_b32_f16 v63, v196, v224
	ds_write_b32 v95, v72 offset:7392
	ds_write2_b32 v67, v64, v63 offset0:160 offset1:216
	v_pack_b32_f16 v63, v184, v186
	ds_write_b32 v95, v63 offset:4480
	v_pack_b32_f16 v63, v185, v187
	ds_write_b32 v95, v63 offset:6048
	v_pack_b32_f16 v63, v188, v189
	ds_write_b32 v95, v63 offset:7616
	v_add_co_u32_e64 v63, s[2:3], s12, v70
	v_addc_co_u32_e64 v64, s[2:3], 0, v71, s[2:3]
	s_waitcnt lgkmcnt(0)
	; wave barrier
	s_waitcnt lgkmcnt(0)
	global_load_dword v76, v[63:64], off offset:3744
	s_movk_i32 s2, 0x1ea0
	v_add_co_u32_e64 v63, s[2:3], s2, v70
	v_addc_co_u32_e64 v64, s[2:3], 0, v71, s[2:3]
	global_load_dword v78, v[63:64], off offset:1960
	global_load_dword v85, v[63:64], off offset:3920
	s_movk_i32 s2, 0x3000
	v_add_co_u32_e64 v72, s[2:3], s2, v70
	v_addc_co_u32_e64 v73, s[2:3], 0, v71, s[2:3]
	global_load_dword v86, v[72:73], off offset:1432
	global_load_dword v87, v[63:64], off offset:224
	;; [unrolled: 1-line block ×3, first 2 shown]
	s_movk_i32 s2, 0x2000
	v_add_co_u32_e64 v74, s[2:3], s2, v70
	v_addc_co_u32_e64 v75, s[2:3], 0, v71, s[2:3]
	global_load_dword v89, v[74:75], off offset:3792
	global_load_dword v90, v[72:73], off offset:1656
	ds_read2_b32 v[70:71], v95 offset1:56
	global_load_dword v91, v[63:64], off offset:448
	global_load_dword v92, v[72:73], off offset:144
	;; [unrolled: 1-line block ×8, first 2 shown]
	s_waitcnt lgkmcnt(0)
	v_lshrrev_b32_e32 v77, 16, v70
	s_waitcnt vmcnt(15)
	v_mul_f16_sdwa v83, v77, v76 dst_sel:DWORD dst_unused:UNUSED_PAD src0_sel:DWORD src1_sel:WORD_1
	v_fma_f16 v83, v70, v76, -v83
	v_mul_f16_sdwa v70, v70, v76 dst_sel:DWORD dst_unused:UNUSED_PAD src0_sel:DWORD src1_sel:WORD_1
	v_fma_f16 v70, v77, v76, v70
	v_pack_b32_f16 v70, v83, v70
	ds_write_b32 v95, v70
	v_add_u32_e32 v70, 0x600, v95
	ds_read2_b32 v[76:77], v70 offset0:106 offset1:162
	global_load_dword v194, v[72:73], off offset:1880
	global_load_dword v195, v[63:64], off offset:672
	;; [unrolled: 1-line block ×6, first 2 shown]
	ds_read2_b32 v[74:75], v68 offset0:84 offset1:140
	global_load_dword v201, v[63:64], off offset:2632
	global_load_dword v202, v[63:64], off offset:2856
	;; [unrolled: 1-line block ×5, first 2 shown]
	s_waitcnt lgkmcnt(1)
	v_lshrrev_b32_e32 v83, 16, v76
	s_waitcnt vmcnt(25)
	v_mul_f16_sdwa v84, v83, v78 dst_sel:DWORD dst_unused:UNUSED_PAD src0_sel:DWORD src1_sel:WORD_1
	v_fma_f16 v84, v76, v78, -v84
	v_mul_f16_sdwa v76, v76, v78 dst_sel:DWORD dst_unused:UNUSED_PAD src0_sel:DWORD src1_sel:WORD_1
	v_fma_f16 v76, v83, v78, v76
	v_pack_b32_f16 v200, v84, v76
	ds_read2_b32 v[83:84], v79 offset0:190 offset1:246
	s_waitcnt lgkmcnt(1)
	v_lshrrev_b32_e32 v76, 16, v74
	s_waitcnt vmcnt(24)
	v_mul_f16_sdwa v78, v76, v85 dst_sel:DWORD dst_unused:UNUSED_PAD src0_sel:DWORD src1_sel:WORD_1
	v_fma_f16 v78, v74, v85, -v78
	v_mul_f16_sdwa v74, v74, v85 dst_sel:DWORD dst_unused:UNUSED_PAD src0_sel:DWORD src1_sel:WORD_1
	v_fma_f16 v74, v76, v85, v74
	v_pack_b32_f16 v85, v78, v74
	s_waitcnt lgkmcnt(0)
	v_lshrrev_b32_e32 v74, 16, v83
	s_waitcnt vmcnt(23)
	v_mul_f16_sdwa v76, v74, v86 dst_sel:DWORD dst_unused:UNUSED_PAD src0_sel:DWORD src1_sel:WORD_1
	v_fma_f16 v76, v83, v86, -v76
	v_mul_f16_sdwa v78, v83, v86 dst_sel:DWORD dst_unused:UNUSED_PAD src0_sel:DWORD src1_sel:WORD_1
	global_load_dword v83, v[72:73], off offset:2104
	v_fma_f16 v74, v74, v86, v78
	v_pack_b32_f16 v86, v76, v74
	v_lshrrev_b32_e32 v74, 16, v71
	s_waitcnt vmcnt(23)
	v_mul_f16_sdwa v76, v74, v87 dst_sel:DWORD dst_unused:UNUSED_PAD src0_sel:DWORD src1_sel:WORD_1
	v_fma_f16 v76, v71, v87, -v76
	v_mul_f16_sdwa v71, v71, v87 dst_sel:DWORD dst_unused:UNUSED_PAD src0_sel:DWORD src1_sel:WORD_1
	v_fma_f16 v71, v74, v87, v71
	v_pack_b32_f16 v76, v76, v71
	v_lshrrev_b32_e32 v71, 16, v77
	s_waitcnt vmcnt(22)
	v_mul_f16_sdwa v74, v71, v88 dst_sel:DWORD dst_unused:UNUSED_PAD src0_sel:DWORD src1_sel:WORD_1
	v_fma_f16 v74, v77, v88, -v74
	v_mul_f16_sdwa v77, v77, v88 dst_sel:DWORD dst_unused:UNUSED_PAD src0_sel:DWORD src1_sel:WORD_1
	v_fma_f16 v71, v71, v88, v77
	global_load_dword v87, v[72:73], off offset:2328
	global_load_dword v88, v[72:73], off offset:2552
	;; [unrolled: 1-line block ×4, first 2 shown]
	v_pack_b32_f16 v77, v74, v71
	v_lshrrev_b32_e32 v71, 16, v75
	s_waitcnt vmcnt(25)
	v_mul_f16_sdwa v72, v71, v89 dst_sel:DWORD dst_unused:UNUSED_PAD src0_sel:DWORD src1_sel:WORD_1
	v_mul_f16_sdwa v73, v75, v89 dst_sel:DWORD dst_unused:UNUSED_PAD src0_sel:DWORD src1_sel:WORD_1
	v_fma_f16 v72, v75, v89, -v72
	v_fma_f16 v71, v71, v89, v73
	v_pack_b32_f16 v89, v72, v71
	ds_read2_b32 v[71:72], v95 offset0:112 offset1:168
	v_lshrrev_b32_e32 v73, 16, v84
	s_waitcnt vmcnt(24)
	v_mul_f16_sdwa v74, v73, v90 dst_sel:DWORD dst_unused:UNUSED_PAD src0_sel:DWORD src1_sel:WORD_1
	v_mul_f16_sdwa v75, v84, v90 dst_sel:DWORD dst_unused:UNUSED_PAD src0_sel:DWORD src1_sel:WORD_1
	v_fma_f16 v74, v84, v90, -v74
	v_fma_f16 v73, v73, v90, v75
	s_waitcnt lgkmcnt(0)
	v_lshrrev_b32_e32 v75, 16, v71
	v_pack_b32_f16 v84, v74, v73
	s_waitcnt vmcnt(23)
	v_mul_f16_sdwa v73, v75, v91 dst_sel:DWORD dst_unused:UNUSED_PAD src0_sel:DWORD src1_sel:WORD_1
	v_fma_f16 v78, v71, v91, -v73
	ds_read2_b32 v[73:74], v67 offset0:90 offset1:146
	v_mul_f16_sdwa v71, v71, v91 dst_sel:DWORD dst_unused:UNUSED_PAD src0_sel:DWORD src1_sel:WORD_1
	v_fma_f16 v71, v75, v91, v71
	v_pack_b32_f16 v71, v78, v71
	ds_write2_b32 v95, v76, v71 offset0:56 offset1:112
	s_waitcnt lgkmcnt(1)
	v_lshrrev_b32_e32 v71, 16, v73
	s_waitcnt vmcnt(17)
	v_mul_f16_sdwa v75, v71, v192 dst_sel:DWORD dst_unused:UNUSED_PAD src0_sel:DWORD src1_sel:WORD_1
	v_fma_f16 v78, v73, v192, -v75
	ds_read2_b32 v[75:76], v80 offset0:68 offset1:124
	v_mul_f16_sdwa v73, v73, v192 dst_sel:DWORD dst_unused:UNUSED_PAD src0_sel:DWORD src1_sel:WORD_1
	v_fma_f16 v71, v71, v192, v73
	v_pack_b32_f16 v71, v78, v71
	ds_write2_b32 v67, v77, v71 offset0:34 offset1:90
	s_waitcnt lgkmcnt(1)
	v_lshrrev_b32_e32 v71, 16, v75
	ds_read2_b32 v[77:78], v82 offset0:46 offset1:102
	s_waitcnt vmcnt(16)
	v_mul_f16_sdwa v73, v71, v193 dst_sel:DWORD dst_unused:UNUSED_PAD src0_sel:DWORD src1_sel:WORD_1
	v_fma_f16 v73, v75, v193, -v73
	v_mul_f16_sdwa v75, v75, v193 dst_sel:DWORD dst_unused:UNUSED_PAD src0_sel:DWORD src1_sel:WORD_1
	v_fma_f16 v71, v71, v193, v75
	v_pack_b32_f16 v71, v73, v71
	ds_write2_b32 v80, v89, v71 offset0:12 offset1:68
	s_waitcnt lgkmcnt(1)
	v_lshrrev_b32_e32 v71, 16, v77
	s_waitcnt vmcnt(15)
	v_mul_f16_sdwa v73, v71, v194 dst_sel:DWORD dst_unused:UNUSED_PAD src0_sel:DWORD src1_sel:WORD_1
	v_mul_f16_sdwa v75, v77, v194 dst_sel:DWORD dst_unused:UNUSED_PAD src0_sel:DWORD src1_sel:WORD_1
	v_fma_f16 v73, v77, v194, -v73
	v_fma_f16 v71, v71, v194, v75
	v_pack_b32_f16 v71, v73, v71
	v_add_u32_e32 v73, 0x1600, v95
	ds_write2_b32 v73, v84, v71 offset0:118 offset1:174
	v_lshrrev_b32_e32 v71, 16, v72
	s_waitcnt vmcnt(14)
	v_mul_f16_sdwa v73, v71, v195 dst_sel:DWORD dst_unused:UNUSED_PAD src0_sel:DWORD src1_sel:WORD_1
	v_fma_f16 v73, v72, v195, -v73
	v_mul_f16_sdwa v72, v72, v195 dst_sel:DWORD dst_unused:UNUSED_PAD src0_sel:DWORD src1_sel:WORD_1
	v_fma_f16 v71, v71, v195, v72
	v_pack_b32_f16 v75, v73, v71
	v_lshrrev_b32_e32 v71, 16, v74
	s_waitcnt vmcnt(9)
	v_mul_f16_sdwa v72, v71, v201 dst_sel:DWORD dst_unused:UNUSED_PAD src0_sel:DWORD src1_sel:WORD_1
	v_mul_f16_sdwa v73, v74, v201 dst_sel:DWORD dst_unused:UNUSED_PAD src0_sel:DWORD src1_sel:WORD_1
	v_fma_f16 v72, v74, v201, -v72
	v_fma_f16 v71, v71, v201, v73
	v_pack_b32_f16 v77, v72, v71
	v_lshrrev_b32_e32 v71, 16, v76
	v_mul_f16_sdwa v72, v71, v92 dst_sel:DWORD dst_unused:UNUSED_PAD src0_sel:DWORD src1_sel:WORD_1
	v_mul_f16_sdwa v73, v76, v92 dst_sel:DWORD dst_unused:UNUSED_PAD src0_sel:DWORD src1_sel:WORD_1
	v_fma_f16 v72, v76, v92, -v72
	v_fma_f16 v71, v71, v92, v73
	v_pack_b32_f16 v84, v72, v71
	ds_read2_b32 v[71:72], v66 offset0:96 offset1:152
	v_lshrrev_b32_e32 v73, 16, v78
	s_waitcnt vmcnt(4)
	v_mul_f16_sdwa v74, v73, v83 dst_sel:DWORD dst_unused:UNUSED_PAD src0_sel:DWORD src1_sel:WORD_1
	v_mul_f16_sdwa v76, v78, v83 dst_sel:DWORD dst_unused:UNUSED_PAD src0_sel:DWORD src1_sel:WORD_1
	v_fma_f16 v74, v78, v83, -v74
	v_fma_f16 v73, v73, v83, v76
	s_waitcnt lgkmcnt(0)
	v_lshrrev_b32_e32 v76, 16, v71
	v_pack_b32_f16 v89, v74, v73
	v_mul_f16_sdwa v73, v76, v196 dst_sel:DWORD dst_unused:UNUSED_PAD src0_sel:DWORD src1_sel:WORD_1
	v_add_u32_e32 v83, 0xa00, v95
	v_fma_f16 v78, v71, v196, -v73
	ds_read2_b32 v[73:74], v83 offset0:74 offset1:130
	v_mul_f16_sdwa v71, v71, v196 dst_sel:DWORD dst_unused:UNUSED_PAD src0_sel:DWORD src1_sel:WORD_1
	v_fma_f16 v71, v76, v196, v71
	v_pack_b32_f16 v71, v78, v71
	ds_write2_b32 v95, v75, v71 offset0:168 offset1:224
	s_waitcnt lgkmcnt(1)
	v_lshrrev_b32_e32 v71, 16, v73
	v_mul_f16_sdwa v75, v71, v202 dst_sel:DWORD dst_unused:UNUSED_PAD src0_sel:DWORD src1_sel:WORD_1
	v_fma_f16 v78, v73, v202, -v75
	ds_read2_b32 v[75:76], v80 offset0:180 offset1:236
	v_mul_f16_sdwa v73, v73, v202 dst_sel:DWORD dst_unused:UNUSED_PAD src0_sel:DWORD src1_sel:WORD_1
	v_fma_f16 v71, v71, v202, v73
	v_pack_b32_f16 v71, v78, v71
	ds_write2_b32 v67, v77, v71 offset0:146 offset1:202
	s_waitcnt lgkmcnt(1)
	v_lshrrev_b32_e32 v71, 16, v75
	ds_read2_b32 v[77:78], v82 offset0:158 offset1:214
	v_mul_f16_sdwa v73, v71, v93 dst_sel:DWORD dst_unused:UNUSED_PAD src0_sel:DWORD src1_sel:WORD_1
	v_fma_f16 v73, v75, v93, -v73
	v_mul_f16_sdwa v75, v75, v93 dst_sel:DWORD dst_unused:UNUSED_PAD src0_sel:DWORD src1_sel:WORD_1
	v_fma_f16 v71, v71, v93, v75
	v_pack_b32_f16 v71, v73, v71
	ds_write2_b32 v80, v84, v71 offset0:124 offset1:180
	s_waitcnt lgkmcnt(1)
	v_lshrrev_b32_e32 v71, 16, v77
	s_waitcnt vmcnt(3)
	v_mul_f16_sdwa v73, v71, v87 dst_sel:DWORD dst_unused:UNUSED_PAD src0_sel:DWORD src1_sel:WORD_1
	v_mul_f16_sdwa v75, v77, v87 dst_sel:DWORD dst_unused:UNUSED_PAD src0_sel:DWORD src1_sel:WORD_1
	v_fma_f16 v73, v77, v87, -v73
	v_fma_f16 v71, v71, v87, v75
	v_pack_b32_f16 v71, v73, v71
	ds_write2_b32 v82, v89, v71 offset0:102 offset1:158
	v_lshrrev_b32_e32 v71, 16, v72
	v_mul_f16_sdwa v73, v71, v197 dst_sel:DWORD dst_unused:UNUSED_PAD src0_sel:DWORD src1_sel:WORD_1
	v_fma_f16 v73, v72, v197, -v73
	v_mul_f16_sdwa v72, v72, v197 dst_sel:DWORD dst_unused:UNUSED_PAD src0_sel:DWORD src1_sel:WORD_1
	v_fma_f16 v71, v71, v197, v72
	v_pack_b32_f16 v75, v73, v71
	v_lshrrev_b32_e32 v71, 16, v74
	v_mul_f16_sdwa v72, v71, v203 dst_sel:DWORD dst_unused:UNUSED_PAD src0_sel:DWORD src1_sel:WORD_1
	v_mul_f16_sdwa v73, v74, v203 dst_sel:DWORD dst_unused:UNUSED_PAD src0_sel:DWORD src1_sel:WORD_1
	v_fma_f16 v72, v74, v203, -v72
	v_fma_f16 v71, v71, v203, v73
	v_pack_b32_f16 v77, v72, v71
	v_lshrrev_b32_e32 v71, 16, v76
	v_mul_f16_sdwa v72, v71, v94 dst_sel:DWORD dst_unused:UNUSED_PAD src0_sel:DWORD src1_sel:WORD_1
	v_mul_f16_sdwa v73, v76, v94 dst_sel:DWORD dst_unused:UNUSED_PAD src0_sel:DWORD src1_sel:WORD_1
	v_fma_f16 v72, v76, v94, -v72
	v_fma_f16 v71, v71, v94, v73
	v_pack_b32_f16 v84, v72, v71
	ds_read2_b32 v[71:72], v81 offset0:80 offset1:136
	v_lshrrev_b32_e32 v73, 16, v78
	s_waitcnt vmcnt(2)
	v_mul_f16_sdwa v74, v73, v88 dst_sel:DWORD dst_unused:UNUSED_PAD src0_sel:DWORD src1_sel:WORD_1
	v_mul_f16_sdwa v76, v78, v88 dst_sel:DWORD dst_unused:UNUSED_PAD src0_sel:DWORD src1_sel:WORD_1
	v_fma_f16 v74, v78, v88, -v74
	v_fma_f16 v73, v73, v88, v76
	s_waitcnt lgkmcnt(0)
	v_lshrrev_b32_e32 v76, 16, v71
	v_pack_b32_f16 v87, v74, v73
	v_mul_f16_sdwa v73, v76, v198 dst_sel:DWORD dst_unused:UNUSED_PAD src0_sel:DWORD src1_sel:WORD_1
	v_fma_f16 v78, v71, v198, -v73
	ds_read2_b32 v[73:74], v65 offset0:58 offset1:114
	v_mul_f16_sdwa v71, v71, v198 dst_sel:DWORD dst_unused:UNUSED_PAD src0_sel:DWORD src1_sel:WORD_1
	v_fma_f16 v71, v76, v198, v71
	v_pack_b32_f16 v71, v78, v71
	ds_write2_b32 v81, v75, v71 offset0:24 offset1:80
	s_waitcnt lgkmcnt(1)
	v_lshrrev_b32_e32 v71, 16, v73
	v_mul_f16_sdwa v75, v71, v204 dst_sel:DWORD dst_unused:UNUSED_PAD src0_sel:DWORD src1_sel:WORD_1
	v_fma_f16 v78, v73, v204, -v75
	ds_read2_b32 v[75:76], v79 offset0:36 offset1:92
	v_mul_f16_sdwa v73, v73, v204 dst_sel:DWORD dst_unused:UNUSED_PAD src0_sel:DWORD src1_sel:WORD_1
	v_fma_f16 v71, v71, v204, v73
	v_pack_b32_f16 v71, v78, v71
	ds_write2_b32 v65, v77, v71 offset0:2 offset1:58
	s_waitcnt lgkmcnt(1)
	v_lshrrev_b32_e32 v71, 16, v75
	ds_read2_b32 v[77:78], v183 offset0:14 offset1:70
	v_mul_f16_sdwa v73, v71, v190 dst_sel:DWORD dst_unused:UNUSED_PAD src0_sel:DWORD src1_sel:WORD_1
	v_fma_f16 v73, v75, v190, -v73
	v_mul_f16_sdwa v75, v75, v190 dst_sel:DWORD dst_unused:UNUSED_PAD src0_sel:DWORD src1_sel:WORD_1
	v_fma_f16 v71, v71, v190, v75
	v_pack_b32_f16 v71, v73, v71
	ds_write2_b32 v69, v84, v71 offset0:108 offset1:164
	s_waitcnt lgkmcnt(1)
	v_lshrrev_b32_e32 v69, 16, v77
	s_waitcnt vmcnt(1)
	v_mul_f16_sdwa v71, v69, v206 dst_sel:DWORD dst_unused:UNUSED_PAD src0_sel:DWORD src1_sel:WORD_1
	v_mul_f16_sdwa v73, v77, v206 dst_sel:DWORD dst_unused:UNUSED_PAD src0_sel:DWORD src1_sel:WORD_1
	v_fma_f16 v71, v77, v206, -v71
	v_fma_f16 v69, v69, v206, v73
	v_pack_b32_f16 v69, v71, v69
	v_add_u32_e32 v71, 0x1a00, v95
	ds_write2_b32 v71, v87, v69 offset0:86 offset1:142
	v_lshrrev_b32_e32 v69, 16, v72
	v_mul_f16_sdwa v71, v69, v199 dst_sel:DWORD dst_unused:UNUSED_PAD src0_sel:DWORD src1_sel:WORD_1
	v_fma_f16 v71, v72, v199, -v71
	v_mul_f16_sdwa v72, v72, v199 dst_sel:DWORD dst_unused:UNUSED_PAD src0_sel:DWORD src1_sel:WORD_1
	v_fma_f16 v69, v69, v199, v72
	v_pack_b32_f16 v69, v71, v69
	ds_write2_b32 v81, v69, v200 offset0:136 offset1:234
	v_lshrrev_b32_e32 v69, 16, v74
	v_mul_f16_sdwa v71, v69, v205 dst_sel:DWORD dst_unused:UNUSED_PAD src0_sel:DWORD src1_sel:WORD_1
	v_mul_f16_sdwa v72, v74, v205 dst_sel:DWORD dst_unused:UNUSED_PAD src0_sel:DWORD src1_sel:WORD_1
	v_fma_f16 v71, v74, v205, -v71
	v_fma_f16 v69, v69, v205, v72
	v_pack_b32_f16 v69, v71, v69
	ds_write2_b32 v65, v69, v85 offset0:114 offset1:212
	v_lshrrev_b32_e32 v69, 16, v76
	v_mul_f16_sdwa v71, v69, v191 dst_sel:DWORD dst_unused:UNUSED_PAD src0_sel:DWORD src1_sel:WORD_1
	v_mul_f16_sdwa v72, v76, v191 dst_sel:DWORD dst_unused:UNUSED_PAD src0_sel:DWORD src1_sel:WORD_1
	v_fma_f16 v71, v76, v191, -v71
	v_fma_f16 v69, v69, v191, v72
	v_pack_b32_f16 v69, v71, v69
	ds_write2_b32 v79, v69, v86 offset0:92 offset1:190
	v_lshrrev_b32_e32 v69, 16, v78
	s_waitcnt vmcnt(0)
	v_mul_f16_sdwa v71, v69, v207 dst_sel:DWORD dst_unused:UNUSED_PAD src0_sel:DWORD src1_sel:WORD_1
	v_mul_f16_sdwa v72, v78, v207 dst_sel:DWORD dst_unused:UNUSED_PAD src0_sel:DWORD src1_sel:WORD_1
	v_fma_f16 v71, v78, v207, -v71
	v_fma_f16 v69, v69, v207, v72
	v_pack_b32_f16 v69, v71, v69
	ds_write_b32 v95, v69 offset:7448
	s_and_saveexec_b64 s[4:5], s[0:1]
	s_cbranch_execz .LBB0_15
; %bb.14:
	global_load_dword v69, v[63:64], off offset:1792
	global_load_dword v71, v[63:64], off offset:3752
	v_add_co_u32_e64 v63, s[2:3], s12, v63
	v_addc_co_u32_e64 v64, s[2:3], 0, v64, s[2:3]
	global_load_dword v72, v[63:64], off offset:1616
	s_nop 0
	global_load_dword v63, v[63:64], off offset:3576
	ds_read_b32 v64, v95 offset:1792
	ds_read_b32 v73, v95 offset:3752
	;; [unrolled: 1-line block ×4, first 2 shown]
	s_waitcnt lgkmcnt(3)
	v_lshrrev_b32_e32 v76, 16, v64
	s_waitcnt lgkmcnt(2)
	v_lshrrev_b32_e32 v77, 16, v73
	;; [unrolled: 2-line block ×4, first 2 shown]
	s_waitcnt vmcnt(3)
	v_mul_f16_sdwa v85, v76, v69 dst_sel:DWORD dst_unused:UNUSED_PAD src0_sel:DWORD src1_sel:WORD_1
	v_mul_f16_sdwa v86, v64, v69 dst_sel:DWORD dst_unused:UNUSED_PAD src0_sel:DWORD src1_sel:WORD_1
	s_waitcnt vmcnt(2)
	v_mul_f16_sdwa v87, v77, v71 dst_sel:DWORD dst_unused:UNUSED_PAD src0_sel:DWORD src1_sel:WORD_1
	v_mul_f16_sdwa v88, v73, v71 dst_sel:DWORD dst_unused:UNUSED_PAD src0_sel:DWORD src1_sel:WORD_1
	v_fma_f16 v64, v64, v69, -v85
	v_fma_f16 v69, v76, v69, v86
	v_fma_f16 v73, v73, v71, -v87
	v_fma_f16 v71, v77, v71, v88
	s_waitcnt vmcnt(1)
	v_mul_f16_sdwa v76, v78, v72 dst_sel:DWORD dst_unused:UNUSED_PAD src0_sel:DWORD src1_sel:WORD_1
	v_mul_f16_sdwa v77, v74, v72 dst_sel:DWORD dst_unused:UNUSED_PAD src0_sel:DWORD src1_sel:WORD_1
	s_waitcnt vmcnt(0)
	v_mul_f16_sdwa v85, v84, v63 dst_sel:DWORD dst_unused:UNUSED_PAD src0_sel:DWORD src1_sel:WORD_1
	v_mul_f16_sdwa v86, v75, v63 dst_sel:DWORD dst_unused:UNUSED_PAD src0_sel:DWORD src1_sel:WORD_1
	v_pack_b32_f16 v64, v64, v69
	v_pack_b32_f16 v69, v73, v71
	v_fma_f16 v71, v74, v72, -v76
	v_fma_f16 v72, v78, v72, v77
	v_fma_f16 v73, v75, v63, -v85
	v_fma_f16 v63, v84, v63, v86
	ds_write_b32 v95, v64 offset:1792
	ds_write_b32 v95, v69 offset:3752
	v_pack_b32_f16 v64, v71, v72
	v_pack_b32_f16 v63, v73, v63
	ds_write_b32 v95, v64 offset:5712
	ds_write_b32 v95, v63 offset:7672
.LBB0_15:
	s_or_b64 exec, exec, s[4:5]
	s_waitcnt lgkmcnt(0)
	; wave barrier
	s_waitcnt lgkmcnt(0)
	ds_read2_b32 v[75:76], v95 offset1:56
	ds_read2_b32 v[77:78], v70 offset0:106 offset1:162
	ds_read2_b32 v[91:92], v68 offset0:84 offset1:140
	;; [unrolled: 1-line block ×15, first 2 shown]
	s_and_saveexec_b64 s[2:3], s[0:1]
	s_cbranch_execz .LBB0_17
; %bb.16:
	ds_read_b32 v184, v95 offset:1792
	ds_read_b32 v185, v95 offset:3752
	;; [unrolled: 1-line block ×4, first 2 shown]
	s_waitcnt lgkmcnt(3)
	v_lshrrev_b32_e32 v186, 16, v184
	s_waitcnt lgkmcnt(2)
	v_lshrrev_b32_e32 v187, 16, v185
	;; [unrolled: 2-line block ×4, first 2 shown]
.LBB0_17:
	s_or_b64 exec, exec, s[2:3]
	s_waitcnt lgkmcnt(5)
	v_pk_add_f16 v207, v67, v83 neg_lo:[0,1] neg_hi:[0,1]
	v_pk_add_f16 v183, v75, v91 neg_lo:[0,1] neg_hi:[0,1]
	s_waitcnt lgkmcnt(4)
	v_pk_add_f16 v208, v69, v85 neg_lo:[0,1] neg_hi:[0,1]
	v_lshrrev_b32_e32 v83, 16, v207
	v_pk_add_f16 v93, v77, v93 neg_lo:[0,1] neg_hi:[0,1]
	v_lshrrev_b32_e32 v91, 16, v183
	v_sub_f16_e32 v210, v83, v208
	v_pk_add_f16 v213, v68, v84 neg_lo:[0,1] neg_hi:[0,1]
	v_add_f16_sdwa v190, v183, v93 dst_sel:DWORD dst_unused:UNUSED_PAD src0_sel:DWORD src1_sel:WORD_1
	v_sub_f16_e32 v191, v91, v93
	v_fma_f16 v212, v83, 2.0, -v210
	v_pk_add_f16 v214, v70, v86 neg_lo:[0,1] neg_hi:[0,1]
	v_lshrrev_b32_e32 v83, 16, v213
	v_pk_fma_f16 v75, v75, 2.0, v183 op_sel_hi:[1,0,1] neg_lo:[0,0,1] neg_hi:[0,0,1]
	v_pk_fma_f16 v77, v77, 2.0, v93 op_sel_hi:[1,0,1] neg_lo:[0,0,1] neg_hi:[0,0,1]
	v_fma_f16 v192, v183, 2.0, -v190
	v_fma_f16 v193, v91, 2.0, -v191
	v_pk_add_f16 v194, v76, v92 neg_lo:[0,1] neg_hi:[0,1]
	v_sub_f16_e32 v216, v83, v214
	v_pk_add_f16 v85, v75, v77 neg_lo:[0,1] neg_hi:[0,1]
	v_pk_add_f16 v94, v78, v94 neg_lo:[0,1] neg_hi:[0,1]
	v_lshrrev_b32_e32 v91, 16, v194
	v_fma_f16 v218, v83, 2.0, -v216
	v_pk_fma_f16 v83, v75, 2.0, v85 op_sel_hi:[1,0,1] neg_lo:[0,0,1] neg_hi:[0,0,1]
	v_pack_b32_f16 v86, v190, v191
	v_pack_b32_f16 v84, v192, v193
	v_add_f16_sdwa v195, v194, v94 dst_sel:DWORD dst_unused:UNUSED_PAD src0_sel:DWORD src1_sel:WORD_1
	v_sub_f16_e32 v196, v91, v94
	v_pk_add_f16 v87, v71, v87 neg_lo:[0,1] neg_hi:[0,1]
	s_waitcnt lgkmcnt(0)
	; wave barrier
	s_waitcnt lgkmcnt(0)
	ds_write_b128 v49, v[83:86]
	v_pk_fma_f16 v49, v76, 2.0, v194 op_sel_hi:[1,0,1] neg_lo:[0,0,1] neg_hi:[0,0,1]
	v_pk_fma_f16 v75, v78, 2.0, v94 op_sel_hi:[1,0,1] neg_lo:[0,0,1] neg_hi:[0,0,1]
	v_fma_f16 v197, v194, 2.0, -v195
	v_fma_f16 v198, v91, 2.0, -v196
	v_pk_add_f16 v89, v73, v89 neg_lo:[0,1] neg_hi:[0,1]
	v_lshrrev_b32_e32 v91, 16, v87
	v_pk_add_f16 v77, v49, v75 neg_lo:[0,1] neg_hi:[0,1]
	v_sub_f16_e32 v200, v91, v89
	v_pk_add_f16 v88, v72, v88 neg_lo:[0,1] neg_hi:[0,1]
	v_pk_fma_f16 v75, v49, 2.0, v77 op_sel_hi:[1,0,1] neg_lo:[0,0,1] neg_hi:[0,0,1]
	v_pack_b32_f16 v78, v195, v196
	v_pack_b32_f16 v76, v197, v198
	v_pk_fma_f16 v49, v71, 2.0, v87 op_sel_hi:[1,0,1] neg_lo:[0,0,1] neg_hi:[0,0,1]
	v_pk_fma_f16 v71, v73, 2.0, v89 op_sel_hi:[1,0,1] neg_lo:[0,0,1] neg_hi:[0,0,1]
	v_fma_f16 v202, v91, 2.0, -v200
	v_pk_add_f16 v90, v74, v90 neg_lo:[0,1] neg_hi:[0,1]
	v_lshrrev_b32_e32 v91, 16, v88
	ds_write_b128 v129, v[75:78]
	v_pk_add_f16 v77, v49, v71 neg_lo:[0,1] neg_hi:[0,1]
	v_add_f16_sdwa v199, v87, v89 dst_sel:DWORD dst_unused:UNUSED_PAD src0_sel:DWORD src1_sel:WORD_1
	v_add_f16_sdwa v203, v88, v90 dst_sel:DWORD dst_unused:UNUSED_PAD src0_sel:DWORD src1_sel:WORD_1
	v_sub_f16_e32 v204, v91, v90
	v_pk_fma_f16 v75, v49, 2.0, v77 op_sel_hi:[1,0,1] neg_lo:[0,0,1] neg_hi:[0,0,1]
	v_pk_fma_f16 v49, v72, 2.0, v88 op_sel_hi:[1,0,1] neg_lo:[0,0,1] neg_hi:[0,0,1]
	;; [unrolled: 1-line block ×3, first 2 shown]
	v_fma_f16 v201, v87, 2.0, -v199
	v_fma_f16 v205, v88, 2.0, -v203
	;; [unrolled: 1-line block ×3, first 2 shown]
	v_pk_add_f16 v73, v49, v71 neg_lo:[0,1] neg_hi:[0,1]
	v_pack_b32_f16 v78, v199, v200
	v_pack_b32_f16 v76, v201, v202
	v_pk_fma_f16 v71, v49, 2.0, v73 op_sel_hi:[1,0,1] neg_lo:[0,0,1] neg_hi:[0,0,1]
	v_pack_b32_f16 v74, v203, v204
	v_pack_b32_f16 v72, v205, v206
	v_pk_fma_f16 v49, v67, 2.0, v207 op_sel_hi:[1,0,1] neg_lo:[0,0,1] neg_hi:[0,0,1]
	v_pk_fma_f16 v67, v69, 2.0, v208 op_sel_hi:[1,0,1] neg_lo:[0,0,1] neg_hi:[0,0,1]
	ds_write_b128 v130, v[75:78]
	ds_write_b128 v131, v[71:74]
	v_pk_add_f16 v73, v49, v67 neg_lo:[0,1] neg_hi:[0,1]
	v_add_f16_sdwa v209, v207, v208 dst_sel:DWORD dst_unused:UNUSED_PAD src0_sel:DWORD src1_sel:WORD_1
	v_add_f16_sdwa v215, v213, v214 dst_sel:DWORD dst_unused:UNUSED_PAD src0_sel:DWORD src1_sel:WORD_1
	v_pk_add_f16 v219, v63, v79 neg_lo:[0,1] neg_hi:[0,1]
	v_pk_fma_f16 v71, v49, 2.0, v73 op_sel_hi:[1,0,1] neg_lo:[0,0,1] neg_hi:[0,0,1]
	v_pk_fma_f16 v49, v68, 2.0, v213 op_sel_hi:[1,0,1] neg_lo:[0,0,1] neg_hi:[0,0,1]
	;; [unrolled: 1-line block ×3, first 2 shown]
	v_fma_f16 v211, v207, 2.0, -v209
	v_fma_f16 v217, v213, 2.0, -v215
	v_pk_add_f16 v220, v65, v81 neg_lo:[0,1] neg_hi:[0,1]
	v_lshrrev_b32_e32 v79, 16, v219
	v_pk_add_f16 v69, v49, v67 neg_lo:[0,1] neg_hi:[0,1]
	v_sub_f16_e32 v222, v79, v220
	v_pk_add_f16 v225, v64, v80 neg_lo:[0,1] neg_hi:[0,1]
	v_pack_b32_f16 v74, v209, v210
	v_pack_b32_f16 v72, v211, v212
	v_pk_fma_f16 v67, v49, 2.0, v69 op_sel_hi:[1,0,1] neg_lo:[0,0,1] neg_hi:[0,0,1]
	v_pack_b32_f16 v70, v215, v216
	v_pack_b32_f16 v68, v217, v218
	v_pk_fma_f16 v49, v63, 2.0, v219 op_sel_hi:[1,0,1] neg_lo:[0,0,1] neg_hi:[0,0,1]
	v_pk_fma_f16 v63, v65, 2.0, v220 op_sel_hi:[1,0,1] neg_lo:[0,0,1] neg_hi:[0,0,1]
	v_fma_f16 v224, v79, 2.0, -v222
	v_pk_add_f16 v226, v66, v82 neg_lo:[0,1] neg_hi:[0,1]
	v_lshrrev_b32_e32 v79, 16, v225
	ds_write_b128 v132, v[71:74]
	ds_write_b128 v133, v[67:70]
	v_pk_add_f16 v69, v49, v63 neg_lo:[0,1] neg_hi:[0,1]
	v_add_f16_sdwa v221, v219, v220 dst_sel:DWORD dst_unused:UNUSED_PAD src0_sel:DWORD src1_sel:WORD_1
	v_add_f16_sdwa v227, v225, v226 dst_sel:DWORD dst_unused:UNUSED_PAD src0_sel:DWORD src1_sel:WORD_1
	v_sub_f16_e32 v228, v79, v226
	v_pk_fma_f16 v67, v49, 2.0, v69 op_sel_hi:[1,0,1] neg_lo:[0,0,1] neg_hi:[0,0,1]
	v_pk_fma_f16 v49, v64, 2.0, v225 op_sel_hi:[1,0,1] neg_lo:[0,0,1] neg_hi:[0,0,1]
	;; [unrolled: 1-line block ×3, first 2 shown]
	v_fma_f16 v223, v219, 2.0, -v221
	v_fma_f16 v229, v225, 2.0, -v227
	v_fma_f16 v230, v79, 2.0, -v228
	v_sub_f16_e32 v81, v184, v188
	v_sub_f16_e32 v79, v186, v189
	;; [unrolled: 1-line block ×4, first 2 shown]
	v_pk_add_f16 v65, v49, v63 neg_lo:[0,1] neg_hi:[0,1]
	v_add_f16_e32 v91, v80, v81
	v_sub_f16_e32 v92, v79, v82
	v_pack_b32_f16 v70, v221, v222
	v_pack_b32_f16 v68, v223, v224
	v_pk_fma_f16 v63, v49, 2.0, v65 op_sel_hi:[1,0,1] neg_lo:[0,0,1] neg_hi:[0,0,1]
	v_pack_b32_f16 v66, v227, v228
	v_pack_b32_f16 v64, v229, v230
	ds_write_b128 v134, v[67:70]
	ds_write_b128 v135, v[63:66]
	s_and_saveexec_b64 s[2:3], s[0:1]
	s_cbranch_execz .LBB0_19
; %bb.18:
	v_fma_f16 v63, v184, 2.0, -v81
	v_fma_f16 v65, v185, 2.0, -v82
	;; [unrolled: 1-line block ×4, first 2 shown]
	v_sub_f16_e32 v65, v63, v65
	v_sub_f16_e32 v67, v66, v67
	v_fma_f16 v49, v81, 2.0, -v91
	v_fma_f16 v64, v79, 2.0, -v92
	;; [unrolled: 1-line block ×4, first 2 shown]
	s_mov_b32 s4, 0x5040100
	v_pack_b32_f16 v65, v65, v67
	v_pack_b32_f16 v63, v63, v66
	v_pack_b32_f16 v64, v49, v64
	v_perm_b32 v66, v92, v91, s4
	ds_write_b128 v136, v[63:66]
.LBB0_19:
	s_or_b64 exec, exec, s[2:3]
	v_add_u32_e32 v65, 0x200, v95
	s_waitcnt lgkmcnt(0)
	; wave barrier
	s_waitcnt lgkmcnt(0)
	ds_read2_b32 v[63:64], v65 offset0:96 offset1:152
	v_add_u32_e32 v49, 0x800, v95
	ds_read2_b32 v[68:69], v49 offset0:48 offset1:104
	v_add_u32_e32 v75, 0xc00, v95
	ds_read2_b32 v[70:71], v75 offset0:16 offset1:72
	s_waitcnt lgkmcnt(2)
	v_lshrrev_b32_e32 v74, 16, v64
	v_add_u32_e32 v66, 0x1000, v95
	v_mul_f16_sdwa v216, v0, v74 dst_sel:DWORD dst_unused:UNUSED_PAD src0_sel:WORD_1 src1_sel:DWORD
	ds_read2_b32 v[72:73], v66 offset0:96 offset1:152
	ds_read2_b32 v[79:80], v95 offset1:56
	s_waitcnt lgkmcnt(3)
	v_lshrrev_b32_e32 v94, 16, v68
	v_add_u32_e32 v77, 0x1400, v95
	v_fma_f16 v216, v0, v64, v216
	v_mul_f16_sdwa v64, v0, v64 dst_sel:DWORD dst_unused:UNUSED_PAD src0_sel:WORD_1 src1_sel:DWORD
	ds_read2_b32 v[81:82], v77 offset0:64 offset1:120
	v_fma_f16 v64, v0, v74, -v64
	v_mul_f16_sdwa v74, v1, v94 dst_sel:DWORD dst_unused:UNUSED_PAD src0_sel:WORD_1 src1_sel:DWORD
	s_waitcnt lgkmcnt(3)
	v_lshrrev_b32_e32 v187, 16, v71
	v_add_u32_e32 v76, 0x1800, v95
	v_fma_f16 v74, v1, v68, v74
	v_mul_f16_sdwa v68, v1, v68 dst_sel:DWORD dst_unused:UNUSED_PAD src0_sel:WORD_1 src1_sel:DWORD
	ds_read2_b32 v[83:84], v76 offset0:144 offset1:200
	v_fma_f16 v68, v1, v94, -v68
	v_mul_f16_sdwa v94, v2, v187 dst_sel:DWORD dst_unused:UNUSED_PAD src0_sel:WORD_1 src1_sel:DWORD
	;; [unrolled: 8-line block ×3, first 2 shown]
	s_waitcnt lgkmcnt(2)
	v_lshrrev_b32_e32 v189, 16, v82
	v_fma_f16 v187, v3, v72, v187
	v_mul_f16_sdwa v72, v3, v72 dst_sel:DWORD dst_unused:UNUSED_PAD src0_sel:WORD_1 src1_sel:DWORD
	v_fma_f16 v72, v3, v188, -v72
	v_mul_f16_sdwa v188, v53, v189 dst_sel:DWORD dst_unused:UNUSED_PAD src0_sel:WORD_1 src1_sel:DWORD
	s_waitcnt lgkmcnt(1)
	v_lshrrev_b32_e32 v190, 16, v83
	v_fma_f16 v188, v53, v82, v188
	v_mul_f16_sdwa v82, v53, v82 dst_sel:DWORD dst_unused:UNUSED_PAD src0_sel:WORD_1 src1_sel:DWORD
	ds_read2_b32 v[87:88], v75 offset0:128 offset1:184
	v_fma_f16 v82, v53, v189, -v82
	v_mul_f16_sdwa v189, v54, v190 dst_sel:DWORD dst_unused:UNUSED_PAD src0_sel:WORD_1 src1_sel:DWORD
	s_waitcnt lgkmcnt(1)
	v_lshrrev_b32_e32 v191, 16, v85
	v_fma_f16 v189, v54, v83, v189
	v_mul_f16_sdwa v83, v54, v83 dst_sel:DWORD dst_unused:UNUSED_PAD src0_sel:WORD_1 src1_sel:DWORD
	v_fma_f16 v83, v54, v190, -v83
	v_mul_f16_sdwa v190, v0, v191 dst_sel:DWORD dst_unused:UNUSED_PAD src0_sel:WORD_1 src1_sel:DWORD
	v_lshrrev_b32_e32 v192, 16, v69
	v_fma_f16 v190, v0, v85, v190
	v_mul_f16_sdwa v85, v0, v85 dst_sel:DWORD dst_unused:UNUSED_PAD src0_sel:WORD_1 src1_sel:DWORD
	ds_read2_b32 v[89:90], v77 offset0:176 offset1:232
	v_fma_f16 v85, v0, v191, -v85
	v_mul_f16_sdwa v191, v1, v192 dst_sel:DWORD dst_unused:UNUSED_PAD src0_sel:WORD_1 src1_sel:DWORD
	s_waitcnt lgkmcnt(1)
	v_lshrrev_b32_e32 v193, 16, v87
	v_fma_f16 v191, v1, v69, v191
	v_mul_f16_sdwa v69, v1, v69 dst_sel:DWORD dst_unused:UNUSED_PAD src0_sel:WORD_1 src1_sel:DWORD
	v_fma_f16 v69, v1, v192, -v69
	v_mul_f16_sdwa v192, v2, v193 dst_sel:DWORD dst_unused:UNUSED_PAD src0_sel:WORD_1 src1_sel:DWORD
	v_lshrrev_b32_e32 v194, 16, v73
	v_fma_f16 v192, v2, v87, v192
	v_mul_f16_sdwa v87, v2, v87 dst_sel:DWORD dst_unused:UNUSED_PAD src0_sel:WORD_1 src1_sel:DWORD
	v_fma_f16 v87, v2, v193, -v87
	v_mul_f16_sdwa v193, v3, v194 dst_sel:DWORD dst_unused:UNUSED_PAD src0_sel:WORD_1 src1_sel:DWORD
	s_waitcnt lgkmcnt(0)
	v_lshrrev_b32_e32 v195, 16, v89
	v_fma_f16 v193, v3, v73, v193
	v_mul_f16_sdwa v73, v3, v73 dst_sel:DWORD dst_unused:UNUSED_PAD src0_sel:WORD_1 src1_sel:DWORD
	ds_read2_b32 v[129:130], v49 offset0:160 offset1:216
	v_fma_f16 v73, v3, v194, -v73
	v_mul_f16_sdwa v194, v53, v195 dst_sel:DWORD dst_unused:UNUSED_PAD src0_sel:WORD_1 src1_sel:DWORD
	v_lshrrev_b32_e32 v196, 16, v84
	v_fma_f16 v194, v53, v89, v194
	v_mul_f16_sdwa v89, v53, v89 dst_sel:DWORD dst_unused:UNUSED_PAD src0_sel:WORD_1 src1_sel:DWORD
	v_fma_f16 v89, v53, v195, -v89
	v_mul_f16_sdwa v195, v54, v196 dst_sel:DWORD dst_unused:UNUSED_PAD src0_sel:WORD_1 src1_sel:DWORD
	v_lshrrev_b32_e32 v197, 16, v86
	v_fma_f16 v195, v54, v84, v195
	v_mul_f16_sdwa v84, v54, v84 dst_sel:DWORD dst_unused:UNUSED_PAD src0_sel:WORD_1 src1_sel:DWORD
	v_add_u32_e32 v67, 0x1200, v95
	v_fma_f16 v84, v54, v196, -v84
	v_mul_f16_sdwa v196, v0, v197 dst_sel:DWORD dst_unused:UNUSED_PAD src0_sel:WORD_1 src1_sel:DWORD
	ds_read2_b32 v[131:132], v67 offset0:80 offset1:136
	ds_read2_b32 v[133:134], v95 offset0:112 offset1:168
	s_waitcnt lgkmcnt(2)
	v_lshrrev_b32_e32 v198, 16, v129
	v_fma_f16 v196, v0, v86, v196
	v_mul_f16_sdwa v86, v0, v86 dst_sel:DWORD dst_unused:UNUSED_PAD src0_sel:WORD_1 src1_sel:DWORD
	v_fma_f16 v86, v0, v197, -v86
	v_mul_f16_sdwa v197, v1, v198 dst_sel:DWORD dst_unused:UNUSED_PAD src0_sel:WORD_1 src1_sel:DWORD
	v_lshrrev_b32_e32 v199, 16, v88
	v_add_u32_e32 v93, 0x1c00, v95
	v_fma_f16 v197, v1, v129, v197
	v_mul_f16_sdwa v129, v1, v129 dst_sel:DWORD dst_unused:UNUSED_PAD src0_sel:WORD_1 src1_sel:DWORD
	ds_read2_b32 v[135:136], v93 offset1:56
	v_fma_f16 v129, v1, v198, -v129
	v_mul_f16_sdwa v198, v2, v199 dst_sel:DWORD dst_unused:UNUSED_PAD src0_sel:WORD_1 src1_sel:DWORD
	s_waitcnt lgkmcnt(2)
	v_lshrrev_b32_e32 v200, 16, v131
	v_fma_f16 v198, v2, v88, v198
	v_mul_f16_sdwa v88, v2, v88 dst_sel:DWORD dst_unused:UNUSED_PAD src0_sel:WORD_1 src1_sel:DWORD
	ds_read2_b32 v[181:182], v78 offset0:192 offset1:248
	v_fma_f16 v88, v2, v199, -v88
	v_mul_f16_sdwa v199, v3, v200 dst_sel:DWORD dst_unused:UNUSED_PAD src0_sel:WORD_1 src1_sel:DWORD
	v_lshrrev_b32_e32 v201, 16, v90
	v_fma_f16 v199, v3, v131, v199
	v_mul_f16_sdwa v131, v3, v131 dst_sel:DWORD dst_unused:UNUSED_PAD src0_sel:WORD_1 src1_sel:DWORD
	v_fma_f16 v131, v3, v200, -v131
	v_mul_f16_sdwa v200, v53, v201 dst_sel:DWORD dst_unused:UNUSED_PAD src0_sel:WORD_1 src1_sel:DWORD
	v_add_u32_e32 v183, 0xe00, v95
	s_waitcnt lgkmcnt(1)
	v_lshrrev_b32_e32 v202, 16, v135
	v_fma_f16 v200, v53, v90, v200
	v_mul_f16_sdwa v90, v53, v90 dst_sel:DWORD dst_unused:UNUSED_PAD src0_sel:WORD_1 src1_sel:DWORD
	ds_read2_b32 v[183:184], v183 offset0:112 offset1:168
	v_fma_f16 v90, v53, v201, -v90
	v_mul_f16_sdwa v201, v54, v202 dst_sel:DWORD dst_unused:UNUSED_PAD src0_sel:WORD_1 src1_sel:DWORD
	s_waitcnt lgkmcnt(1)
	v_lshrrev_b32_e32 v203, 16, v181
	v_fma_f16 v201, v54, v135, v201
	v_mul_f16_sdwa v135, v54, v135 dst_sel:DWORD dst_unused:UNUSED_PAD src0_sel:WORD_1 src1_sel:DWORD
	v_fma_f16 v135, v54, v202, -v135
	v_mul_f16_sdwa v202, v0, v203 dst_sel:DWORD dst_unused:UNUSED_PAD src0_sel:WORD_1 src1_sel:DWORD
	v_lshrrev_b32_e32 v204, 16, v130
	v_fma_f16 v202, v0, v181, v202
	v_mul_f16_sdwa v181, v0, v181 dst_sel:DWORD dst_unused:UNUSED_PAD src0_sel:WORD_1 src1_sel:DWORD
	ds_read2_b32 v[185:186], v76 offset0:32 offset1:88
	v_fma_f16 v181, v0, v203, -v181
	v_mul_f16_sdwa v203, v1, v204 dst_sel:DWORD dst_unused:UNUSED_PAD src0_sel:WORD_1 src1_sel:DWORD
	s_waitcnt lgkmcnt(1)
	v_lshrrev_b32_e32 v205, 16, v183
	v_fma_f16 v203, v1, v130, v203
	v_mul_f16_sdwa v130, v1, v130 dst_sel:DWORD dst_unused:UNUSED_PAD src0_sel:WORD_1 src1_sel:DWORD
	v_fma_f16 v130, v1, v204, -v130
	v_mul_f16_sdwa v204, v2, v205 dst_sel:DWORD dst_unused:UNUSED_PAD src0_sel:WORD_1 src1_sel:DWORD
	v_lshrrev_b32_e32 v206, 16, v132
	v_fma_f16 v204, v2, v183, v204
	v_mul_f16_sdwa v183, v2, v183 dst_sel:DWORD dst_unused:UNUSED_PAD src0_sel:WORD_1 src1_sel:DWORD
	v_fma_f16 v183, v2, v205, -v183
	v_mul_f16_sdwa v205, v3, v206 dst_sel:DWORD dst_unused:UNUSED_PAD src0_sel:WORD_1 src1_sel:DWORD
	s_waitcnt lgkmcnt(0)
	v_lshrrev_b32_e32 v207, 16, v185
	v_fma_f16 v205, v3, v132, v205
	v_mul_f16_sdwa v132, v3, v132 dst_sel:DWORD dst_unused:UNUSED_PAD src0_sel:WORD_1 src1_sel:DWORD
	v_fma_f16 v132, v3, v206, -v132
	v_mul_f16_sdwa v206, v53, v207 dst_sel:DWORD dst_unused:UNUSED_PAD src0_sel:WORD_1 src1_sel:DWORD
	v_lshrrev_b32_e32 v208, 16, v136
	v_fma_f16 v206, v53, v185, v206
	v_mul_f16_sdwa v185, v53, v185 dst_sel:DWORD dst_unused:UNUSED_PAD src0_sel:WORD_1 src1_sel:DWORD
	v_fma_f16 v185, v53, v207, -v185
	v_mul_f16_sdwa v207, v54, v208 dst_sel:DWORD dst_unused:UNUSED_PAD src0_sel:WORD_1 src1_sel:DWORD
	;; [unrolled: 5-line block ×4, first 2 shown]
	v_lshrrev_b32_e32 v212, 16, v184
	v_fma_f16 v182, v1, v70, v182
	v_mul_f16_sdwa v70, v1, v70 dst_sel:DWORD dst_unused:UNUSED_PAD src0_sel:WORD_1 src1_sel:DWORD
	ds_read_b32 v210, v95 offset:7616
	v_fma_f16 v1, v1, v211, -v70
	v_mul_f16_sdwa v70, v2, v212 dst_sel:DWORD dst_unused:UNUSED_PAD src0_sel:WORD_1 src1_sel:DWORD
	v_lshrrev_b32_e32 v213, 16, v81
	v_fma_f16 v70, v2, v184, v70
	v_mul_f16_sdwa v184, v2, v184 dst_sel:DWORD dst_unused:UNUSED_PAD src0_sel:WORD_1 src1_sel:DWORD
	v_fma_f16 v2, v2, v212, -v184
	v_mul_f16_sdwa v184, v3, v213 dst_sel:DWORD dst_unused:UNUSED_PAD src0_sel:WORD_1 src1_sel:DWORD
	v_lshrrev_b32_e32 v214, 16, v186
	v_fma_f16 v184, v3, v81, v184
	v_mul_f16_sdwa v81, v3, v81 dst_sel:DWORD dst_unused:UNUSED_PAD src0_sel:WORD_1 src1_sel:DWORD
	v_fma_f16 v3, v3, v213, -v81
	v_mul_f16_sdwa v81, v53, v214 dst_sel:DWORD dst_unused:UNUSED_PAD src0_sel:WORD_1 src1_sel:DWORD
	s_waitcnt lgkmcnt(0)
	v_lshrrev_b32_e32 v215, 16, v210
	v_fma_f16 v81, v53, v186, v81
	v_mul_f16_sdwa v186, v53, v186 dst_sel:DWORD dst_unused:UNUSED_PAD src0_sel:WORD_1 src1_sel:DWORD
	v_fma_f16 v53, v53, v214, -v186
	v_mul_f16_sdwa v186, v54, v215 dst_sel:DWORD dst_unused:UNUSED_PAD src0_sel:WORD_1 src1_sel:DWORD
	v_mul_f16_sdwa v209, v54, v210 dst_sel:DWORD dst_unused:UNUSED_PAD src0_sel:WORD_1 src1_sel:DWORD
	v_fma_f16 v186, v54, v210, v186
	v_fma_f16 v54, v54, v215, -v209
	v_add_f16_e32 v209, v216, v189
	v_add_f16_e32 v210, v64, v83
	v_sub_f16_e32 v64, v64, v83
	v_add_f16_e32 v83, v74, v188
	v_add_f16_e32 v211, v68, v82
	v_sub_f16_e32 v189, v216, v189
	v_sub_f16_e32 v74, v74, v188
	;; [unrolled: 1-line block ×3, first 2 shown]
	v_add_f16_e32 v82, v94, v187
	v_add_f16_e32 v188, v71, v72
	v_sub_f16_e32 v94, v187, v94
	v_sub_f16_e32 v71, v72, v71
	v_add_f16_e32 v72, v83, v209
	v_add_f16_e32 v187, v211, v210
	v_sub_f16_e32 v212, v83, v209
	v_sub_f16_e32 v213, v211, v210
	;; [unrolled: 1-line block ×6, first 2 shown]
	v_add_f16_e32 v214, v94, v74
	v_add_f16_e32 v215, v71, v68
	v_sub_f16_e32 v216, v94, v74
	v_sub_f16_e32 v217, v71, v68
	;; [unrolled: 1-line block ×4, first 2 shown]
	v_add_f16_e32 v72, v82, v72
	v_add_f16_e32 v82, v188, v187
	v_sub_f16_e32 v94, v189, v94
	v_sub_f16_e32 v71, v64, v71
	v_add_f16_e32 v187, v214, v189
	v_add_f16_e32 v64, v215, v64
	;; [unrolled: 1-line block ×3, first 2 shown]
	v_add_f16_sdwa v79, v79, v82 dst_sel:DWORD dst_unused:UNUSED_PAD src0_sel:WORD_1 src1_sel:DWORD
	v_mul_f16_e32 v189, 0x3a52, v209
	v_mul_f16_e32 v209, 0x3a52, v210
	s_movk_i32 s3, 0x2b26
	v_mul_f16_e32 v210, 0x2b26, v83
	v_mul_f16_e32 v214, 0x2b26, v211
	;; [unrolled: 1-line block ×4, first 2 shown]
	s_mov_b32 s2, 0xbb00
	v_mul_f16_e32 v217, 0xbb00, v74
	v_mul_f16_e32 v218, 0xbb00, v68
	s_mov_b32 s4, 0xbcab
	s_movk_i32 s5, 0x39e0
	s_mov_b32 s13, 0xb9e0
	s_mov_b32 s14, 0xb574
	s_movk_i32 s15, 0x3574
	v_fma_f16 v72, v72, s4, v188
	v_fma_f16 v82, v82, s4, v79
	;; [unrolled: 1-line block ×4, first 2 shown]
	v_fma_f16 v210, v212, s5, -v210
	v_fma_f16 v214, v213, s5, -v214
	;; [unrolled: 1-line block ×4, first 2 shown]
	v_fma_f16 v212, v94, s14, v215
	v_fma_f16 v213, v71, s14, v216
	v_fma_f16 v68, v68, s2, -v216
	v_fma_f16 v94, v94, s15, -v217
	;; [unrolled: 1-line block ×3, first 2 shown]
	s_mov_b32 s12, 0xb70e
	v_fma_f16 v74, v74, s2, -v215
	v_add_f16_e32 v83, v83, v72
	v_add_f16_e32 v211, v211, v82
	;; [unrolled: 1-line block ×6, first 2 shown]
	v_fma_f16 v189, v187, s12, v212
	v_fma_f16 v209, v64, s12, v213
	;; [unrolled: 1-line block ×6, first 2 shown]
	v_add_f16_e32 v71, v209, v83
	v_sub_f16_e32 v187, v211, v189
	v_add_f16_e32 v212, v64, v72
	v_sub_f16_e32 v213, v82, v94
	v_sub_f16_e32 v64, v72, v64
	v_add_f16_e32 v72, v94, v82
	v_sub_f16_e32 v82, v83, v209
	v_add_f16_e32 v83, v189, v211
	v_add_f16_e32 v94, v190, v195
	;; [unrolled: 1-line block ×3, first 2 shown]
	v_sub_f16_e32 v190, v190, v195
	v_sub_f16_e32 v84, v85, v84
	v_add_f16_e32 v85, v191, v194
	v_add_f16_e32 v195, v69, v89
	v_sub_f16_e32 v191, v191, v194
	v_sub_f16_e32 v69, v69, v89
	v_add_f16_e32 v89, v192, v193
	v_add_f16_e32 v194, v87, v73
	;; [unrolled: 4-line block ×3, first 2 shown]
	v_sub_f16_e32 v215, v210, v68
	v_add_f16_e32 v216, v74, v214
	v_add_f16_e32 v68, v68, v210
	v_sub_f16_e32 v74, v214, v74
	v_sub_f16_e32 v209, v85, v94
	;; [unrolled: 1-line block ×7, first 2 shown]
	v_add_f16_e32 v211, v192, v191
	v_add_f16_e32 v214, v73, v69
	v_sub_f16_e32 v217, v192, v191
	v_sub_f16_e32 v218, v73, v69
	;; [unrolled: 1-line block ×4, first 2 shown]
	v_add_f16_e32 v87, v89, v87
	v_add_f16_e32 v89, v194, v193
	v_sub_f16_e32 v192, v190, v192
	v_sub_f16_e32 v73, v84, v73
	v_add_f16_e32 v190, v211, v190
	v_add_f16_e32 v84, v214, v84
	v_add_f16_e32 v193, v80, v87
	v_add_f16_sdwa v80, v80, v89 dst_sel:DWORD dst_unused:UNUSED_PAD src0_sel:WORD_1 src1_sel:DWORD
	v_mul_f16_e32 v94, 0x3a52, v94
	v_mul_f16_e32 v189, 0x3a52, v189
	;; [unrolled: 1-line block ×8, first 2 shown]
	v_fma_f16 v87, v87, s4, v193
	v_fma_f16 v89, v89, s4, v80
	;; [unrolled: 1-line block ×4, first 2 shown]
	v_fma_f16 v194, v209, s5, -v194
	v_fma_f16 v211, v210, s5, -v211
	;; [unrolled: 1-line block ×4, first 2 shown]
	v_fma_f16 v209, v192, s14, v214
	v_fma_f16 v210, v73, s14, v217
	v_fma_f16 v191, v191, s2, -v214
	v_fma_f16 v69, v69, s2, -v217
	;; [unrolled: 1-line block ×4, first 2 shown]
	v_add_f16_e32 v85, v85, v87
	v_add_f16_e32 v195, v195, v89
	;; [unrolled: 1-line block ×6, first 2 shown]
	v_fma_f16 v94, v190, s12, v209
	v_fma_f16 v189, v84, s12, v210
	;; [unrolled: 1-line block ×6, first 2 shown]
	v_add_f16_e32 v84, v189, v85
	v_sub_f16_e32 v192, v195, v94
	v_add_f16_e32 v209, v73, v87
	v_sub_f16_e32 v210, v89, v190
	v_sub_f16_e32 v214, v194, v69
	v_add_f16_e32 v69, v69, v194
	v_sub_f16_e32 v73, v87, v73
	v_add_f16_e32 v87, v190, v89
	;; [unrolled: 2-line block ×3, first 2 shown]
	v_add_f16_e32 v94, v196, v201
	v_add_f16_e32 v189, v86, v135
	v_sub_f16_e32 v86, v86, v135
	v_add_f16_e32 v135, v197, v200
	v_add_f16_e32 v194, v129, v90
	v_sub_f16_e32 v190, v196, v201
	v_sub_f16_e32 v195, v197, v200
	;; [unrolled: 1-line block ×3, first 2 shown]
	v_add_f16_e32 v129, v198, v199
	v_add_f16_e32 v196, v88, v131
	v_sub_f16_e32 v197, v199, v198
	v_sub_f16_e32 v88, v131, v88
	v_add_f16_e32 v131, v135, v94
	v_add_f16_e32 v198, v194, v189
	;; [unrolled: 1-line block ×3, first 2 shown]
	v_sub_f16_e32 v191, v211, v191
	v_sub_f16_e32 v199, v135, v94
	;; [unrolled: 1-line block ×7, first 2 shown]
	v_add_f16_e32 v201, v197, v195
	v_add_f16_e32 v211, v88, v90
	v_sub_f16_e32 v218, v197, v195
	v_sub_f16_e32 v219, v88, v90
	;; [unrolled: 1-line block ×4, first 2 shown]
	v_add_f16_e32 v129, v129, v131
	v_add_f16_e32 v131, v196, v198
	v_sub_f16_e32 v197, v190, v197
	v_sub_f16_e32 v88, v86, v88
	v_add_f16_e32 v190, v201, v190
	v_add_f16_e32 v86, v211, v86
	;; [unrolled: 1-line block ×3, first 2 shown]
	v_add_f16_sdwa v133, v133, v131 dst_sel:DWORD dst_unused:UNUSED_PAD src0_sel:WORD_1 src1_sel:DWORD
	v_mul_f16_e32 v94, 0x3a52, v94
	v_mul_f16_e32 v189, 0x3a52, v189
	;; [unrolled: 1-line block ×8, first 2 shown]
	v_fma_f16 v129, v129, s4, v196
	v_fma_f16 v131, v131, s4, v133
	;; [unrolled: 1-line block ×4, first 2 shown]
	v_fma_f16 v198, v199, s5, -v198
	v_fma_f16 v201, v200, s5, -v201
	;; [unrolled: 1-line block ×4, first 2 shown]
	v_fma_f16 v199, v197, s14, v211
	v_fma_f16 v200, v88, s14, v218
	v_fma_f16 v195, v195, s2, -v211
	v_fma_f16 v90, v90, s2, -v218
	;; [unrolled: 1-line block ×4, first 2 shown]
	v_add_f16_e32 v135, v135, v129
	v_add_f16_e32 v194, v194, v131
	;; [unrolled: 1-line block ×6, first 2 shown]
	v_fma_f16 v131, v190, s12, v199
	v_fma_f16 v189, v86, s12, v200
	;; [unrolled: 1-line block ×6, first 2 shown]
	v_sub_f16_e32 v197, v194, v131
	v_add_f16_e32 v199, v86, v94
	v_sub_f16_e32 v200, v129, v190
	v_sub_f16_e32 v86, v94, v86
	v_add_f16_e32 v190, v190, v129
	v_add_f16_e32 v131, v131, v194
	;; [unrolled: 1-line block ×4, first 2 shown]
	v_sub_f16_e32 v136, v181, v136
	v_add_f16_e32 v181, v203, v206
	v_add_f16_e32 v194, v130, v185
	;; [unrolled: 1-line block ×3, first 2 shown]
	v_sub_f16_e32 v211, v198, v90
	v_add_f16_e32 v218, v195, v201
	v_add_f16_e32 v90, v90, v198
	v_sub_f16_e32 v195, v201, v195
	v_sub_f16_e32 v135, v135, v189
	;; [unrolled: 1-line block ×5, first 2 shown]
	v_add_f16_e32 v185, v204, v205
	v_add_f16_e32 v201, v183, v132
	v_sub_f16_e32 v202, v205, v204
	v_sub_f16_e32 v132, v132, v183
	v_add_f16_e32 v183, v181, v94
	v_add_f16_e32 v203, v194, v129
	v_sub_f16_e32 v204, v181, v94
	v_sub_f16_e32 v205, v194, v129
	;; [unrolled: 1-line block ×6, first 2 shown]
	v_add_f16_e32 v206, v202, v198
	v_add_f16_e32 v207, v132, v130
	v_sub_f16_e32 v219, v202, v198
	v_sub_f16_e32 v220, v132, v130
	;; [unrolled: 1-line block ×4, first 2 shown]
	v_add_f16_e32 v183, v185, v183
	v_add_f16_e32 v185, v201, v203
	v_sub_f16_e32 v202, v189, v202
	v_sub_f16_e32 v132, v136, v132
	v_add_f16_e32 v189, v206, v189
	v_add_f16_e32 v136, v207, v136
	;; [unrolled: 1-line block ×3, first 2 shown]
	v_add_f16_sdwa v134, v134, v185 dst_sel:DWORD dst_unused:UNUSED_PAD src0_sel:WORD_1 src1_sel:DWORD
	v_mul_f16_e32 v94, 0x3a52, v94
	v_mul_f16_e32 v129, 0x3a52, v129
	;; [unrolled: 1-line block ×8, first 2 shown]
	v_fma_f16 v183, v183, s4, v201
	v_fma_f16 v185, v185, s4, v134
	;; [unrolled: 1-line block ×4, first 2 shown]
	v_fma_f16 v203, v204, s5, -v203
	v_fma_f16 v206, v205, s5, -v206
	;; [unrolled: 1-line block ×4, first 2 shown]
	v_fma_f16 v204, v202, s14, v207
	v_fma_f16 v205, v132, s14, v219
	v_fma_f16 v198, v198, s2, -v207
	v_fma_f16 v202, v202, s15, -v220
	;; [unrolled: 1-line block ×4, first 2 shown]
	v_add_f16_e32 v181, v181, v183
	v_add_f16_e32 v194, v194, v185
	;; [unrolled: 1-line block ×6, first 2 shown]
	v_fma_f16 v183, v189, s12, v204
	v_fma_f16 v185, v136, s12, v205
	;; [unrolled: 1-line block ×6, first 2 shown]
	v_add_f16_e32 v136, v185, v181
	v_add_f16_e32 v204, v132, v94
	v_sub_f16_e32 v205, v129, v189
	v_sub_f16_e32 v132, v94, v132
	v_add_f16_e32 v189, v189, v129
	v_sub_f16_e32 v181, v181, v185
	v_add_f16_e32 v94, v208, v186
	v_add_f16_e32 v129, v0, v54
	v_sub_f16_e32 v185, v208, v186
	v_sub_f16_e32 v0, v0, v54
	v_add_f16_e32 v54, v182, v81
	v_add_f16_e32 v186, v1, v53
	v_sub_f16_e32 v81, v182, v81
	v_sub_f16_e32 v1, v1, v53
	v_add_f16_e32 v53, v70, v184
	v_add_f16_e32 v182, v2, v3
	v_sub_f16_e32 v70, v184, v70
	v_sub_f16_e32 v2, v3, v2
	v_add_f16_e32 v3, v54, v94
	v_add_f16_e32 v184, v186, v129
	v_sub_f16_e32 v202, v194, v183
	v_sub_f16_e32 v207, v203, v130
	v_add_f16_e32 v219, v198, v206
	v_add_f16_e32 v130, v130, v203
	v_sub_f16_e32 v198, v206, v198
	v_add_f16_e32 v183, v183, v194
	v_sub_f16_e32 v194, v54, v94
	v_sub_f16_e32 v203, v186, v129
	;; [unrolled: 1-line block ×6, first 2 shown]
	v_add_f16_e32 v206, v70, v81
	v_add_f16_e32 v208, v2, v1
	v_sub_f16_e32 v220, v70, v81
	v_sub_f16_e32 v221, v2, v1
	;; [unrolled: 1-line block ×4, first 2 shown]
	v_add_f16_e32 v3, v53, v3
	v_add_f16_e32 v53, v182, v184
	v_sub_f16_e32 v70, v185, v70
	v_sub_f16_e32 v2, v0, v2
	v_add_f16_e32 v182, v206, v185
	v_add_f16_e32 v0, v208, v0
	;; [unrolled: 1-line block ×3, first 2 shown]
	v_add_f16_sdwa v63, v63, v53 dst_sel:DWORD dst_unused:UNUSED_PAD src0_sel:WORD_1 src1_sel:DWORD
	v_mul_f16_e32 v94, 0x3a52, v94
	v_mul_f16_e32 v129, 0x3a52, v129
	;; [unrolled: 1-line block ×8, first 2 shown]
	v_fma_f16 v3, v3, s4, v184
	v_fma_f16 v53, v53, s4, v63
	;; [unrolled: 1-line block ×4, first 2 shown]
	v_fma_f16 v185, v194, s5, -v185
	v_fma_f16 v206, v203, s5, -v206
	;; [unrolled: 1-line block ×4, first 2 shown]
	v_fma_f16 v194, v70, s14, v208
	v_fma_f16 v203, v2, s14, v220
	v_fma_f16 v1, v1, s2, -v220
	v_fma_f16 v70, v70, s15, -v221
	v_fma_f16 v2, v2, s15, -v222
	v_add_f16_e32 v54, v54, v3
	v_add_f16_e32 v186, v186, v53
	;; [unrolled: 1-line block ×6, first 2 shown]
	v_fma_f16 v94, v0, s12, v203
	v_fma_f16 v1, v0, s12, v1
	;; [unrolled: 1-line block ×5, first 2 shown]
	v_add_f16_e32 v2, v94, v54
	v_add_f16_e32 v194, v0, v3
	v_sub_f16_e32 v203, v53, v70
	v_sub_f16_e32 v0, v3, v0
	v_add_f16_e32 v3, v70, v53
	v_sub_f16_e32 v94, v54, v94
	v_pack_b32_f16 v53, v188, v79
	v_pack_b32_f16 v54, v71, v187
	s_waitcnt lgkmcnt(0)
	; wave barrier
	ds_write2_b32 v137, v53, v54 offset1:4
	v_pack_b32_f16 v53, v212, v213
	v_pack_b32_f16 v54, v215, v216
	ds_write2_b32 v137, v53, v54 offset0:8 offset1:12
	v_pack_b32_f16 v53, v68, v74
	v_pack_b32_f16 v54, v64, v72
	ds_write2_b32 v137, v53, v54 offset0:16 offset1:20
	v_pack_b32_f16 v53, v82, v83
	ds_write_b32 v137, v53 offset:96
	v_pack_b32_f16 v53, v193, v80
	v_pack_b32_f16 v54, v84, v192
	ds_write2_b32 v138, v53, v54 offset1:4
	v_pack_b32_f16 v53, v209, v210
	v_pack_b32_f16 v54, v214, v217
	ds_write2_b32 v138, v53, v54 offset0:8 offset1:12
	v_pack_b32_f16 v53, v69, v191
	v_pack_b32_f16 v54, v73, v87
	ds_write2_b32 v138, v53, v54 offset0:16 offset1:20
	v_pack_b32_f16 v53, v85, v89
	ds_write_b32 v138, v53 offset:96
	v_pack_b32_f16 v53, v196, v133
	v_pack_b32_f16 v54, v88, v197
	;; [unrolled: 11-line block ×3, first 2 shown]
	v_fma_f16 v81, v81, s2, -v208
	ds_write2_b32 v140, v53, v54 offset1:4
	v_pack_b32_f16 v53, v204, v205
	v_pack_b32_f16 v54, v207, v219
	v_fma_f16 v81, v182, s12, v81
	ds_write2_b32 v140, v53, v54 offset0:8 offset1:12
	v_pack_b32_f16 v53, v130, v198
	v_pack_b32_f16 v54, v132, v189
	v_sub_f16_e32 v182, v186, v129
	v_sub_f16_e32 v208, v185, v1
	v_add_f16_e32 v220, v81, v206
	v_add_f16_e32 v1, v1, v185
	v_sub_f16_e32 v81, v206, v81
	ds_write2_b32 v140, v53, v54 offset0:16 offset1:20
	v_pack_b32_f16 v53, v181, v183
	v_add_f16_e32 v129, v129, v186
	ds_write_b32 v140, v53 offset:96
	v_pack_b32_f16 v53, v184, v63
	v_pack_b32_f16 v2, v2, v182
	;; [unrolled: 1-line block ×4, first 2 shown]
	ds_write2_b32 v141, v53, v2 offset1:4
	v_pack_b32_f16 v2, v194, v203
	v_pack_b32_f16 v53, v208, v220
	ds_write2_b32 v141, v1, v0 offset0:16 offset1:20
	v_pack_b32_f16 v0, v94, v129
	ds_write2_b32 v141, v2, v53 offset0:8 offset1:12
	ds_write_b32 v141, v0 offset:96
	s_waitcnt lgkmcnt(0)
	; wave barrier
	s_waitcnt lgkmcnt(0)
	ds_read2_b32 v[73:74], v95 offset1:56
	ds_read2_b32 v[0:1], v75 offset0:128 offset1:212
	ds_read2_b32 v[89:90], v66 offset0:12 offset1:68
	;; [unrolled: 1-line block ×9, first 2 shown]
	v_add_u32_e32 v2, 0x1600, v95
	ds_read2_b32 v[81:82], v2 offset0:76 offset1:132
	ds_read2_b32 v[63:64], v49 offset0:48 offset1:104
	;; [unrolled: 1-line block ×7, first 2 shown]
	s_and_saveexec_b64 s[2:3], vcc
	s_cbranch_execz .LBB0_21
; %bb.20:
	ds_read_b32 v94, v95 offset:3808
	ds_read_b32 v91, v95 offset:7728
	s_waitcnt lgkmcnt(1)
	v_lshrrev_b32_e32 v129, 16, v94
	s_waitcnt lgkmcnt(0)
	v_lshrrev_b32_e32 v92, 16, v91
.LBB0_21:
	s_or_b64 exec, exec, s[2:3]
	s_waitcnt lgkmcnt(14)
	v_lshrrev_b32_e32 v93, 16, v1
	v_mul_f16_sdwa v201, v151, v93 dst_sel:DWORD dst_unused:UNUSED_PAD src0_sel:WORD_1 src1_sel:DWORD
	v_lshrrev_b32_e32 v131, 16, v89
	v_fma_f16 v201, v151, v1, v201
	v_mul_f16_sdwa v1, v151, v1 dst_sel:DWORD dst_unused:UNUSED_PAD src0_sel:WORD_1 src1_sel:DWORD
	v_fma_f16 v1, v151, v93, -v1
	v_mul_f16_sdwa v93, v150, v131 dst_sel:DWORD dst_unused:UNUSED_PAD src0_sel:WORD_1 src1_sel:DWORD
	v_lshrrev_b32_e32 v133, 16, v90
	v_fma_f16 v93, v150, v89, v93
	v_mul_f16_sdwa v89, v150, v89 dst_sel:DWORD dst_unused:UNUSED_PAD src0_sel:WORD_1 src1_sel:DWORD
	v_fma_f16 v89, v150, v131, -v89
	v_mul_f16_sdwa v131, v149, v133 dst_sel:DWORD dst_unused:UNUSED_PAD src0_sel:WORD_1 src1_sel:DWORD
	s_waitcnt lgkmcnt(12)
	v_lshrrev_b32_e32 v135, 16, v87
	v_fma_f16 v131, v149, v90, v131
	v_mul_f16_sdwa v90, v149, v90 dst_sel:DWORD dst_unused:UNUSED_PAD src0_sel:WORD_1 src1_sel:DWORD
	v_fma_f16 v90, v149, v133, -v90
	v_mul_f16_sdwa v133, v148, v135 dst_sel:DWORD dst_unused:UNUSED_PAD src0_sel:WORD_1 src1_sel:DWORD
	v_lshrrev_b32_e32 v137, 16, v88
	v_fma_f16 v133, v148, v87, v133
	v_mul_f16_sdwa v87, v148, v87 dst_sel:DWORD dst_unused:UNUSED_PAD src0_sel:WORD_1 src1_sel:DWORD
	v_fma_f16 v87, v148, v135, -v87
	v_mul_f16_sdwa v135, v147, v137 dst_sel:DWORD dst_unused:UNUSED_PAD src0_sel:WORD_1 src1_sel:DWORD
	s_waitcnt lgkmcnt(10)
	;; [unrolled: 11-line block ×3, first 2 shown]
	v_lshrrev_b32_e32 v182, 16, v83
	v_fma_f16 v139, v145, v86, v139
	v_mul_f16_sdwa v86, v145, v86 dst_sel:DWORD dst_unused:UNUSED_PAD src0_sel:WORD_1 src1_sel:DWORD
	v_fma_f16 v86, v145, v141, -v86
	v_mul_f16_sdwa v141, v144, v182 dst_sel:DWORD dst_unused:UNUSED_PAD src0_sel:WORD_1 src1_sel:DWORD
	v_lshrrev_b32_e32 v184, 16, v84
	v_fma_f16 v141, v144, v83, v141
	v_mul_f16_sdwa v83, v144, v83 dst_sel:DWORD dst_unused:UNUSED_PAD src0_sel:WORD_1 src1_sel:DWORD
	v_fma_f16 v83, v144, v182, -v83
	v_mul_f16_sdwa v144, v153, v184 dst_sel:DWORD dst_unused:UNUSED_PAD src0_sel:WORD_1 src1_sel:DWORD
	v_lshrrev_b32_e32 v49, 16, v73
	v_fma_f16 v144, v153, v84, v144
	v_mul_f16_sdwa v84, v153, v84 dst_sel:DWORD dst_unused:UNUSED_PAD src0_sel:WORD_1 src1_sel:DWORD
	v_lshrrev_b32_e32 v130, 16, v74
	v_fma_f16 v84, v153, v184, -v84
	v_sub_f16_e32 v153, v73, v201
	v_sub_f16_e32 v1, v49, v1
	v_lshrrev_b32_e32 v132, 16, v71
	v_fma_f16 v73, v73, 2.0, -v153
	v_fma_f16 v49, v49, 2.0, -v1
	v_sub_f16_e32 v93, v74, v93
	v_sub_f16_e32 v89, v130, v89
	v_lshrrev_b32_e32 v134, 16, v72
	v_fma_f16 v74, v74, 2.0, -v93
	v_fma_f16 v130, v130, 2.0, -v89
	v_sub_f16_e32 v131, v71, v131
	v_sub_f16_e32 v90, v132, v90
	v_pack_b32_f16 v49, v73, v49
	v_pack_b32_f16 v1, v153, v1
	v_lshrrev_b32_e32 v136, 16, v69
	v_fma_f16 v71, v71, 2.0, -v131
	v_fma_f16 v132, v132, 2.0, -v90
	v_sub_f16_e32 v133, v72, v133
	v_sub_f16_e32 v87, v134, v87
	s_waitcnt lgkmcnt(0)
	; wave barrier
	s_waitcnt lgkmcnt(0)
	ds_write2_b32 v161, v49, v1 offset1:28
	v_pack_b32_f16 v1, v74, v130
	v_pack_b32_f16 v49, v93, v89
	v_lshrrev_b32_e32 v138, 16, v70
	v_fma_f16 v72, v72, 2.0, -v133
	v_fma_f16 v134, v134, 2.0, -v87
	v_sub_f16_e32 v135, v69, v135
	v_sub_f16_e32 v88, v136, v88
	ds_write2_b32 v162, v1, v49 offset1:28
	v_pack_b32_f16 v1, v71, v132
	v_pack_b32_f16 v49, v131, v90
	v_lshrrev_b32_e32 v140, 16, v67
	v_lshrrev_b32_e32 v186, 16, v81
	v_fma_f16 v69, v69, 2.0, -v135
	v_fma_f16 v136, v136, 2.0, -v88
	v_sub_f16_e32 v137, v70, v137
	v_sub_f16_e32 v85, v138, v85
	ds_write2_b32 v163, v1, v49 offset1:28
	v_pack_b32_f16 v1, v72, v134
	v_pack_b32_f16 v49, v133, v87
	v_lshrrev_b32_e32 v181, 16, v68
	v_lshrrev_b32_e32 v188, 16, v82
	v_mul_f16_sdwa v145, v154, v186 dst_sel:DWORD dst_unused:UNUSED_PAD src0_sel:WORD_1 src1_sel:DWORD
	v_fma_f16 v70, v70, 2.0, -v137
	v_fma_f16 v138, v138, 2.0, -v85
	v_sub_f16_e32 v139, v67, v139
	v_sub_f16_e32 v86, v140, v86
	ds_write2_b32 v164, v1, v49 offset1:28
	v_pack_b32_f16 v1, v69, v136
	v_pack_b32_f16 v49, v135, v88
	v_lshrrev_b32_e32 v183, 16, v65
	v_lshrrev_b32_e32 v190, 16, v79
	;; [unrolled: 1-line block ×3, first 2 shown]
	v_fma_f16 v145, v154, v81, v145
	v_mul_f16_sdwa v81, v154, v81 dst_sel:DWORD dst_unused:UNUSED_PAD src0_sel:WORD_1 src1_sel:DWORD
	v_mul_f16_sdwa v146, v155, v188 dst_sel:DWORD dst_unused:UNUSED_PAD src0_sel:WORD_1 src1_sel:DWORD
	v_fma_f16 v67, v67, 2.0, -v139
	v_fma_f16 v140, v140, 2.0, -v86
	v_sub_f16_e32 v141, v68, v141
	v_sub_f16_e32 v83, v181, v83
	ds_write2_b32 v165, v1, v49 offset1:28
	v_pack_b32_f16 v1, v70, v138
	v_pack_b32_f16 v49, v137, v85
	v_lshrrev_b32_e32 v185, 16, v66
	v_lshrrev_b32_e32 v192, 16, v80
	;; [unrolled: 1-line block ×3, first 2 shown]
	v_fma_f16 v81, v154, v186, -v81
	v_fma_f16 v146, v155, v82, v146
	v_mul_f16_sdwa v82, v155, v82 dst_sel:DWORD dst_unused:UNUSED_PAD src0_sel:WORD_1 src1_sel:DWORD
	v_mul_f16_sdwa v147, v158, v190 dst_sel:DWORD dst_unused:UNUSED_PAD src0_sel:WORD_1 src1_sel:DWORD
	;; [unrolled: 1-line block ×3, first 2 shown]
	v_fma_f16 v68, v68, 2.0, -v141
	v_fma_f16 v154, v181, 2.0, -v83
	v_sub_f16_e32 v144, v65, v144
	v_sub_f16_e32 v84, v183, v84
	ds_write2_b32 v166, v1, v49 offset1:28
	v_pack_b32_f16 v1, v67, v140
	v_pack_b32_f16 v49, v139, v86
	v_lshrrev_b32_e32 v187, 16, v63
	v_lshrrev_b32_e32 v198, 16, v75
	v_fma_f16 v82, v155, v188, -v82
	v_fma_f16 v147, v158, v79, v147
	v_mul_f16_sdwa v79, v158, v79 dst_sel:DWORD dst_unused:UNUSED_PAD src0_sel:WORD_1 src1_sel:DWORD
	v_mul_f16_sdwa v148, v159, v192 dst_sel:DWORD dst_unused:UNUSED_PAD src0_sel:WORD_1 src1_sel:DWORD
	v_mul_f16_sdwa v149, v157, v194 dst_sel:DWORD dst_unused:UNUSED_PAD src0_sel:WORD_1 src1_sel:DWORD
	v_fma_f16 v150, v156, v78, v150
	v_mul_f16_sdwa v78, v156, v78 dst_sel:DWORD dst_unused:UNUSED_PAD src0_sel:WORD_1 src1_sel:DWORD
	v_fma_f16 v65, v65, 2.0, -v144
	v_fma_f16 v155, v183, 2.0, -v84
	v_sub_f16_e32 v145, v66, v145
	v_sub_f16_e32 v81, v185, v81
	ds_write2_b32 v167, v1, v49 offset1:28
	v_pack_b32_f16 v1, v68, v154
	v_pack_b32_f16 v49, v141, v83
	v_lshrrev_b32_e32 v189, 16, v64
	v_fma_f16 v79, v158, v190, -v79
	v_fma_f16 v148, v159, v80, v148
	v_mul_f16_sdwa v80, v159, v80 dst_sel:DWORD dst_unused:UNUSED_PAD src0_sel:WORD_1 src1_sel:DWORD
	v_fma_f16 v149, v157, v77, v149
	v_mul_f16_sdwa v77, v157, v77 dst_sel:DWORD dst_unused:UNUSED_PAD src0_sel:WORD_1 src1_sel:DWORD
	v_fma_f16 v78, v156, v196, -v78
	v_mul_f16_sdwa v151, v152, v198 dst_sel:DWORD dst_unused:UNUSED_PAD src0_sel:WORD_1 src1_sel:DWORD
	v_fma_f16 v66, v66, 2.0, -v145
	v_fma_f16 v156, v185, 2.0, -v81
	v_sub_f16_e32 v146, v63, v146
	v_sub_f16_e32 v82, v187, v82
	ds_write2_b32 v168, v1, v49 offset1:28
	v_pack_b32_f16 v1, v65, v155
	v_pack_b32_f16 v49, v144, v84
	v_lshrrev_b32_e32 v191, 16, v53
	v_lshrrev_b32_e32 v200, 16, v76
	v_fma_f16 v80, v159, v192, -v80
	v_fma_f16 v77, v157, v194, -v77
	v_fma_f16 v151, v152, v75, v151
	v_mul_f16_sdwa v75, v152, v75 dst_sel:DWORD dst_unused:UNUSED_PAD src0_sel:WORD_1 src1_sel:DWORD
	v_fma_f16 v63, v63, 2.0, -v146
	v_fma_f16 v157, v187, 2.0, -v82
	v_sub_f16_e32 v147, v64, v147
	v_sub_f16_e32 v79, v189, v79
	ds_write2_b32 v169, v1, v49 offset1:28
	v_pack_b32_f16 v1, v66, v156
	v_pack_b32_f16 v49, v145, v81
	v_lshrrev_b32_e32 v193, 16, v54
	v_fma_f16 v75, v152, v198, -v75
	v_mul_f16_sdwa v152, v160, v200 dst_sel:DWORD dst_unused:UNUSED_PAD src0_sel:WORD_1 src1_sel:DWORD
	v_fma_f16 v64, v64, 2.0, -v147
	v_fma_f16 v158, v189, 2.0, -v79
	v_sub_f16_e32 v148, v53, v148
	v_sub_f16_e32 v80, v191, v80
	ds_write2_b32 v170, v1, v49 offset1:28
	v_pack_b32_f16 v1, v63, v157
	v_pack_b32_f16 v49, v146, v82
	v_lshrrev_b32_e32 v195, 16, v2
	v_fma_f16 v152, v160, v76, v152
	v_mul_f16_sdwa v76, v160, v76 dst_sel:DWORD dst_unused:UNUSED_PAD src0_sel:WORD_1 src1_sel:DWORD
	v_fma_f16 v53, v53, 2.0, -v148
	v_fma_f16 v159, v191, 2.0, -v80
	v_sub_f16_e32 v149, v54, v149
	v_sub_f16_e32 v77, v193, v77
	ds_write2_b32 v171, v1, v49 offset1:28
	v_pack_b32_f16 v1, v64, v158
	v_pack_b32_f16 v49, v147, v79
	v_lshrrev_b32_e32 v197, 16, v3
	v_fma_f16 v76, v160, v200, -v76
	v_fma_f16 v54, v54, 2.0, -v149
	v_fma_f16 v160, v193, 2.0, -v77
	v_sub_f16_e32 v150, v2, v150
	v_sub_f16_e32 v78, v195, v78
	ds_write2_b32 v172, v1, v49 offset1:28
	v_pack_b32_f16 v1, v53, v159
	v_pack_b32_f16 v49, v148, v80
	v_lshrrev_b32_e32 v199, 16, v0
	v_fma_f16 v2, v2, 2.0, -v150
	v_fma_f16 v181, v195, 2.0, -v78
	v_sub_f16_e32 v151, v3, v151
	v_sub_f16_e32 v75, v197, v75
	ds_write2_b32 v173, v1, v49 offset1:28
	v_pack_b32_f16 v1, v54, v160
	v_pack_b32_f16 v49, v149, v77
	v_fma_f16 v3, v3, 2.0, -v151
	v_fma_f16 v182, v197, 2.0, -v75
	v_sub_f16_e32 v152, v0, v152
	v_sub_f16_e32 v76, v199, v76
	ds_write2_b32 v174, v1, v49 offset1:28
	v_pack_b32_f16 v1, v2, v181
	v_pack_b32_f16 v2, v150, v78
	v_fma_f16 v0, v0, 2.0, -v152
	v_fma_f16 v183, v199, 2.0, -v76
	ds_write2_b32 v175, v1, v2 offset1:28
	v_pack_b32_f16 v1, v3, v182
	v_pack_b32_f16 v2, v151, v75
	ds_write2_b32 v176, v1, v2 offset1:28
	v_pack_b32_f16 v0, v0, v183
	v_pack_b32_f16 v1, v152, v76
	ds_write2_b32 v177, v0, v1 offset1:28
	s_and_saveexec_b64 s[2:3], vcc
	s_cbranch_execz .LBB0_23
; %bb.22:
	v_mul_f16_sdwa v0, v143, v92 dst_sel:DWORD dst_unused:UNUSED_PAD src0_sel:WORD_1 src1_sel:DWORD
	v_mul_f16_sdwa v2, v143, v91 dst_sel:DWORD dst_unused:UNUSED_PAD src0_sel:WORD_1 src1_sel:DWORD
	v_fma_f16 v0, v143, v91, v0
	v_fma_f16 v2, v143, v92, -v2
	v_sub_f16_e32 v0, v94, v0
	v_sub_f16_e32 v2, v129, v2
	v_fma_f16 v1, v94, 2.0, -v0
	v_fma_f16 v3, v129, 2.0, -v2
	v_pack_b32_f16 v1, v1, v3
	v_pack_b32_f16 v0, v0, v2
	v_add_u32_e32 v2, 0x1c00, v142
	ds_write2_b32 v2, v1, v0 offset0:112 offset1:140
.LBB0_23:
	s_or_b64 exec, exec, s[2:3]
	v_add_u32_e32 v66, 0x200, v95
	s_waitcnt lgkmcnt(0)
	; wave barrier
	s_waitcnt lgkmcnt(0)
	ds_read2_b32 v[0:1], v66 offset0:96 offset1:152
	v_add_u32_e32 v67, 0x800, v95
	ds_read2_b32 v[69:70], v67 offset0:48 offset1:104
	v_add_u32_e32 v54, 0xc00, v95
	ds_read2_b32 v[71:72], v54 offset0:16 offset1:72
	s_waitcnt lgkmcnt(2)
	v_lshrrev_b32_e32 v3, 16, v1
	v_add_u32_e32 v65, 0x1000, v95
	v_mul_f16_sdwa v165, v4, v3 dst_sel:DWORD dst_unused:UNUSED_PAD src0_sel:WORD_1 src1_sel:DWORD
	ds_read2_b32 v[73:74], v65 offset0:96 offset1:152
	ds_read2_b32 v[75:76], v95 offset1:56
	s_waitcnt lgkmcnt(3)
	v_lshrrev_b32_e32 v135, 16, v69
	v_add_u32_e32 v53, 0x1400, v95
	v_fma_f16 v165, v4, v1, v165
	v_mul_f16_sdwa v1, v4, v1 dst_sel:DWORD dst_unused:UNUSED_PAD src0_sel:WORD_1 src1_sel:DWORD
	ds_read2_b32 v[77:78], v53 offset0:64 offset1:120
	v_fma_f16 v1, v4, v3, -v1
	v_mul_f16_sdwa v3, v5, v135 dst_sel:DWORD dst_unused:UNUSED_PAD src0_sel:WORD_1 src1_sel:DWORD
	s_waitcnt lgkmcnt(3)
	v_lshrrev_b32_e32 v136, 16, v72
	v_add_u32_e32 v64, 0x1800, v95
	v_fma_f16 v3, v5, v69, v3
	v_mul_f16_sdwa v69, v5, v69 dst_sel:DWORD dst_unused:UNUSED_PAD src0_sel:WORD_1 src1_sel:DWORD
	ds_read2_b32 v[79:80], v64 offset0:144 offset1:200
	v_fma_f16 v69, v5, v135, -v69
	v_mul_f16_sdwa v135, v6, v136 dst_sel:DWORD dst_unused:UNUSED_PAD src0_sel:WORD_1 src1_sel:DWORD
	;; [unrolled: 8-line block ×3, first 2 shown]
	s_waitcnt lgkmcnt(2)
	v_lshrrev_b32_e32 v138, 16, v78
	v_fma_f16 v136, v7, v73, v136
	v_mul_f16_sdwa v73, v7, v73 dst_sel:DWORD dst_unused:UNUSED_PAD src0_sel:WORD_1 src1_sel:DWORD
	v_fma_f16 v73, v7, v137, -v73
	v_mul_f16_sdwa v137, v55, v138 dst_sel:DWORD dst_unused:UNUSED_PAD src0_sel:WORD_1 src1_sel:DWORD
	s_waitcnt lgkmcnt(1)
	v_lshrrev_b32_e32 v139, 16, v79
	v_fma_f16 v137, v55, v78, v137
	v_mul_f16_sdwa v78, v55, v78 dst_sel:DWORD dst_unused:UNUSED_PAD src0_sel:WORD_1 src1_sel:DWORD
	ds_read2_b32 v[83:84], v54 offset0:128 offset1:184
	v_fma_f16 v78, v55, v138, -v78
	v_mul_f16_sdwa v138, v56, v139 dst_sel:DWORD dst_unused:UNUSED_PAD src0_sel:WORD_1 src1_sel:DWORD
	s_waitcnt lgkmcnt(1)
	v_lshrrev_b32_e32 v140, 16, v81
	v_fma_f16 v138, v56, v79, v138
	v_mul_f16_sdwa v79, v56, v79 dst_sel:DWORD dst_unused:UNUSED_PAD src0_sel:WORD_1 src1_sel:DWORD
	v_fma_f16 v79, v56, v139, -v79
	v_mul_f16_sdwa v139, v4, v140 dst_sel:DWORD dst_unused:UNUSED_PAD src0_sel:WORD_1 src1_sel:DWORD
	v_lshrrev_b32_e32 v141, 16, v70
	v_fma_f16 v139, v4, v81, v139
	v_mul_f16_sdwa v81, v4, v81 dst_sel:DWORD dst_unused:UNUSED_PAD src0_sel:WORD_1 src1_sel:DWORD
	ds_read2_b32 v[85:86], v53 offset0:176 offset1:232
	v_fma_f16 v4, v4, v140, -v81
	v_mul_f16_sdwa v81, v5, v141 dst_sel:DWORD dst_unused:UNUSED_PAD src0_sel:WORD_1 src1_sel:DWORD
	s_waitcnt lgkmcnt(1)
	v_lshrrev_b32_e32 v142, 16, v83
	v_fma_f16 v81, v5, v70, v81
	v_mul_f16_sdwa v70, v5, v70 dst_sel:DWORD dst_unused:UNUSED_PAD src0_sel:WORD_1 src1_sel:DWORD
	v_fma_f16 v5, v5, v141, -v70
	v_mul_f16_sdwa v70, v6, v142 dst_sel:DWORD dst_unused:UNUSED_PAD src0_sel:WORD_1 src1_sel:DWORD
	v_lshrrev_b32_e32 v143, 16, v74
	v_fma_f16 v70, v6, v83, v70
	v_mul_f16_sdwa v83, v6, v83 dst_sel:DWORD dst_unused:UNUSED_PAD src0_sel:WORD_1 src1_sel:DWORD
	v_fma_f16 v6, v6, v142, -v83
	v_mul_f16_sdwa v83, v7, v143 dst_sel:DWORD dst_unused:UNUSED_PAD src0_sel:WORD_1 src1_sel:DWORD
	s_waitcnt lgkmcnt(0)
	v_lshrrev_b32_e32 v144, 16, v85
	v_fma_f16 v83, v7, v74, v83
	v_mul_f16_sdwa v74, v7, v74 dst_sel:DWORD dst_unused:UNUSED_PAD src0_sel:WORD_1 src1_sel:DWORD
	ds_read2_b32 v[87:88], v67 offset0:160 offset1:216
	v_fma_f16 v7, v7, v143, -v74
	v_mul_f16_sdwa v74, v55, v144 dst_sel:DWORD dst_unused:UNUSED_PAD src0_sel:WORD_1 src1_sel:DWORD
	v_lshrrev_b32_e32 v145, 16, v80
	v_fma_f16 v74, v55, v85, v74
	v_mul_f16_sdwa v85, v55, v85 dst_sel:DWORD dst_unused:UNUSED_PAD src0_sel:WORD_1 src1_sel:DWORD
	v_fma_f16 v55, v55, v144, -v85
	v_mul_f16_sdwa v85, v56, v145 dst_sel:DWORD dst_unused:UNUSED_PAD src0_sel:WORD_1 src1_sel:DWORD
	v_lshrrev_b32_e32 v146, 16, v82
	v_fma_f16 v85, v56, v80, v85
	v_mul_f16_sdwa v80, v56, v80 dst_sel:DWORD dst_unused:UNUSED_PAD src0_sel:WORD_1 src1_sel:DWORD
	v_add_u32_e32 v2, 0x1200, v95
	v_fma_f16 v56, v56, v145, -v80
	v_mul_f16_sdwa v80, v12, v146 dst_sel:DWORD dst_unused:UNUSED_PAD src0_sel:WORD_1 src1_sel:DWORD
	ds_read2_b32 v[89:90], v2 offset0:80 offset1:136
	ds_read2_b32 v[91:92], v95 offset0:112 offset1:168
	s_waitcnt lgkmcnt(2)
	v_lshrrev_b32_e32 v147, 16, v87
	v_fma_f16 v80, v12, v82, v80
	v_mul_f16_sdwa v82, v12, v82 dst_sel:DWORD dst_unused:UNUSED_PAD src0_sel:WORD_1 src1_sel:DWORD
	v_fma_f16 v12, v12, v146, -v82
	v_mul_f16_sdwa v82, v13, v147 dst_sel:DWORD dst_unused:UNUSED_PAD src0_sel:WORD_1 src1_sel:DWORD
	v_lshrrev_b32_e32 v148, 16, v84
	v_add_u32_e32 v49, 0x1c00, v95
	v_fma_f16 v82, v13, v87, v82
	v_mul_f16_sdwa v87, v13, v87 dst_sel:DWORD dst_unused:UNUSED_PAD src0_sel:WORD_1 src1_sel:DWORD
	ds_read2_b32 v[93:94], v49 offset1:56
	v_fma_f16 v13, v13, v147, -v87
	v_mul_f16_sdwa v87, v14, v148 dst_sel:DWORD dst_unused:UNUSED_PAD src0_sel:WORD_1 src1_sel:DWORD
	s_waitcnt lgkmcnt(2)
	v_lshrrev_b32_e32 v149, 16, v89
	v_fma_f16 v87, v14, v84, v87
	v_mul_f16_sdwa v84, v14, v84 dst_sel:DWORD dst_unused:UNUSED_PAD src0_sel:WORD_1 src1_sel:DWORD
	ds_read2_b32 v[129:130], v63 offset0:192 offset1:248
	v_fma_f16 v14, v14, v148, -v84
	v_mul_f16_sdwa v84, v15, v149 dst_sel:DWORD dst_unused:UNUSED_PAD src0_sel:WORD_1 src1_sel:DWORD
	v_lshrrev_b32_e32 v150, 16, v86
	v_fma_f16 v84, v15, v89, v84
	v_mul_f16_sdwa v89, v15, v89 dst_sel:DWORD dst_unused:UNUSED_PAD src0_sel:WORD_1 src1_sel:DWORD
	v_fma_f16 v15, v15, v149, -v89
	v_mul_f16_sdwa v89, v57, v150 dst_sel:DWORD dst_unused:UNUSED_PAD src0_sel:WORD_1 src1_sel:DWORD
	v_add_u32_e32 v68, 0xe00, v95
	s_waitcnt lgkmcnt(1)
	v_lshrrev_b32_e32 v151, 16, v93
	v_fma_f16 v89, v57, v86, v89
	v_mul_f16_sdwa v86, v57, v86 dst_sel:DWORD dst_unused:UNUSED_PAD src0_sel:WORD_1 src1_sel:DWORD
	ds_read2_b32 v[131:132], v68 offset0:112 offset1:168
	v_fma_f16 v57, v57, v150, -v86
	v_mul_f16_sdwa v86, v58, v151 dst_sel:DWORD dst_unused:UNUSED_PAD src0_sel:WORD_1 src1_sel:DWORD
	s_waitcnt lgkmcnt(1)
	v_lshrrev_b32_e32 v152, 16, v129
	v_fma_f16 v86, v58, v93, v86
	v_mul_f16_sdwa v93, v58, v93 dst_sel:DWORD dst_unused:UNUSED_PAD src0_sel:WORD_1 src1_sel:DWORD
	v_fma_f16 v58, v58, v151, -v93
	v_mul_f16_sdwa v93, v8, v152 dst_sel:DWORD dst_unused:UNUSED_PAD src0_sel:WORD_1 src1_sel:DWORD
	v_lshrrev_b32_e32 v153, 16, v88
	v_fma_f16 v93, v8, v129, v93
	v_mul_f16_sdwa v129, v8, v129 dst_sel:DWORD dst_unused:UNUSED_PAD src0_sel:WORD_1 src1_sel:DWORD
	ds_read2_b32 v[133:134], v64 offset0:32 offset1:88
	v_fma_f16 v8, v8, v152, -v129
	v_mul_f16_sdwa v129, v9, v153 dst_sel:DWORD dst_unused:UNUSED_PAD src0_sel:WORD_1 src1_sel:DWORD
	s_waitcnt lgkmcnt(1)
	v_lshrrev_b32_e32 v154, 16, v131
	v_fma_f16 v129, v9, v88, v129
	v_mul_f16_sdwa v88, v9, v88 dst_sel:DWORD dst_unused:UNUSED_PAD src0_sel:WORD_1 src1_sel:DWORD
	v_fma_f16 v9, v9, v153, -v88
	v_mul_f16_sdwa v88, v10, v154 dst_sel:DWORD dst_unused:UNUSED_PAD src0_sel:WORD_1 src1_sel:DWORD
	v_lshrrev_b32_e32 v155, 16, v90
	v_fma_f16 v88, v10, v131, v88
	v_mul_f16_sdwa v131, v10, v131 dst_sel:DWORD dst_unused:UNUSED_PAD src0_sel:WORD_1 src1_sel:DWORD
	v_fma_f16 v10, v10, v154, -v131
	v_mul_f16_sdwa v131, v11, v155 dst_sel:DWORD dst_unused:UNUSED_PAD src0_sel:WORD_1 src1_sel:DWORD
	s_waitcnt lgkmcnt(0)
	v_lshrrev_b32_e32 v156, 16, v133
	v_fma_f16 v131, v11, v90, v131
	v_mul_f16_sdwa v90, v11, v90 dst_sel:DWORD dst_unused:UNUSED_PAD src0_sel:WORD_1 src1_sel:DWORD
	v_fma_f16 v11, v11, v155, -v90
	v_mul_f16_sdwa v90, v59, v156 dst_sel:DWORD dst_unused:UNUSED_PAD src0_sel:WORD_1 src1_sel:DWORD
	v_lshrrev_b32_e32 v157, 16, v94
	v_fma_f16 v90, v59, v133, v90
	v_mul_f16_sdwa v133, v59, v133 dst_sel:DWORD dst_unused:UNUSED_PAD src0_sel:WORD_1 src1_sel:DWORD
	v_fma_f16 v59, v59, v156, -v133
	v_mul_f16_sdwa v133, v60, v157 dst_sel:DWORD dst_unused:UNUSED_PAD src0_sel:WORD_1 src1_sel:DWORD
	;; [unrolled: 5-line block ×4, first 2 shown]
	v_lshrrev_b32_e32 v161, 16, v132
	v_fma_f16 v130, v17, v71, v130
	v_mul_f16_sdwa v71, v17, v71 dst_sel:DWORD dst_unused:UNUSED_PAD src0_sel:WORD_1 src1_sel:DWORD
	ds_read_b32 v159, v95 offset:7616
	v_fma_f16 v17, v17, v160, -v71
	v_mul_f16_sdwa v71, v18, v161 dst_sel:DWORD dst_unused:UNUSED_PAD src0_sel:WORD_1 src1_sel:DWORD
	v_lshrrev_b32_e32 v162, 16, v77
	v_fma_f16 v71, v18, v132, v71
	v_mul_f16_sdwa v132, v18, v132 dst_sel:DWORD dst_unused:UNUSED_PAD src0_sel:WORD_1 src1_sel:DWORD
	v_fma_f16 v18, v18, v161, -v132
	v_mul_f16_sdwa v132, v19, v162 dst_sel:DWORD dst_unused:UNUSED_PAD src0_sel:WORD_1 src1_sel:DWORD
	v_lshrrev_b32_e32 v163, 16, v134
	v_fma_f16 v132, v19, v77, v132
	v_mul_f16_sdwa v77, v19, v77 dst_sel:DWORD dst_unused:UNUSED_PAD src0_sel:WORD_1 src1_sel:DWORD
	v_fma_f16 v19, v19, v162, -v77
	v_mul_f16_sdwa v77, v61, v163 dst_sel:DWORD dst_unused:UNUSED_PAD src0_sel:WORD_1 src1_sel:DWORD
	s_waitcnt lgkmcnt(0)
	v_lshrrev_b32_e32 v164, 16, v159
	v_fma_f16 v77, v61, v134, v77
	v_mul_f16_sdwa v134, v61, v134 dst_sel:DWORD dst_unused:UNUSED_PAD src0_sel:WORD_1 src1_sel:DWORD
	v_fma_f16 v61, v61, v163, -v134
	v_mul_f16_sdwa v134, v62, v164 dst_sel:DWORD dst_unused:UNUSED_PAD src0_sel:WORD_1 src1_sel:DWORD
	v_mul_f16_sdwa v140, v62, v159 dst_sel:DWORD dst_unused:UNUSED_PAD src0_sel:WORD_1 src1_sel:DWORD
	v_fma_f16 v134, v62, v159, v134
	v_fma_f16 v62, v62, v164, -v140
	v_add_f16_e32 v140, v165, v138
	v_add_f16_e32 v141, v1, v79
	v_sub_f16_e32 v1, v1, v79
	v_add_f16_e32 v79, v3, v137
	v_add_f16_e32 v142, v69, v78
	v_sub_f16_e32 v138, v165, v138
	v_sub_f16_e32 v3, v3, v137
	;; [unrolled: 1-line block ×3, first 2 shown]
	v_add_f16_e32 v78, v135, v136
	v_add_f16_e32 v137, v72, v73
	v_sub_f16_e32 v135, v136, v135
	v_sub_f16_e32 v72, v73, v72
	v_add_f16_e32 v73, v79, v140
	v_add_f16_e32 v136, v142, v141
	v_sub_f16_e32 v143, v79, v140
	v_sub_f16_e32 v144, v142, v141
	v_sub_f16_e32 v140, v140, v78
	v_sub_f16_e32 v141, v141, v137
	v_sub_f16_e32 v79, v78, v79
	v_sub_f16_e32 v142, v137, v142
	v_add_f16_e32 v145, v135, v3
	v_add_f16_e32 v146, v72, v69
	v_sub_f16_e32 v147, v135, v3
	v_sub_f16_e32 v148, v72, v69
	;; [unrolled: 1-line block ×4, first 2 shown]
	v_add_f16_e32 v73, v78, v73
	v_add_f16_e32 v78, v137, v136
	v_sub_f16_e32 v135, v138, v135
	v_sub_f16_e32 v72, v1, v72
	v_add_f16_e32 v136, v145, v138
	v_add_f16_e32 v1, v146, v1
	;; [unrolled: 1-line block ×3, first 2 shown]
	v_add_f16_sdwa v75, v75, v78 dst_sel:DWORD dst_unused:UNUSED_PAD src0_sel:WORD_1 src1_sel:DWORD
	v_mul_f16_e32 v138, 0x3a52, v140
	v_mul_f16_e32 v140, 0x3a52, v141
	s_movk_i32 s3, 0x2b26
	v_mul_f16_e32 v141, 0x2b26, v79
	v_mul_f16_e32 v145, 0x2b26, v142
	v_mul_f16_e32 v146, 0x3846, v147
	v_mul_f16_e32 v147, 0x3846, v148
	s_mov_b32 s2, 0xbb00
	v_mul_f16_e32 v148, 0xbb00, v3
	v_mul_f16_e32 v149, 0xbb00, v69
	v_fma_f16 v73, v73, s4, v137
	v_fma_f16 v78, v78, s4, v75
	v_fma_f16 v79, v79, s3, v138
	v_fma_f16 v142, v142, s3, v140
	v_fma_f16 v141, v143, s5, -v141
	v_fma_f16 v145, v144, s5, -v145
	;; [unrolled: 1-line block ×4, first 2 shown]
	v_fma_f16 v143, v135, s14, v146
	v_fma_f16 v144, v72, s14, v147
	v_fma_f16 v69, v69, s2, -v147
	v_fma_f16 v135, v135, s15, -v148
	v_fma_f16 v72, v72, s15, -v149
	v_fma_f16 v3, v3, s2, -v146
	v_add_f16_e32 v79, v79, v73
	v_add_f16_e32 v142, v142, v78
	;; [unrolled: 1-line block ×6, first 2 shown]
	v_fma_f16 v138, v136, s12, v143
	v_fma_f16 v140, v1, s12, v144
	;; [unrolled: 1-line block ×6, first 2 shown]
	v_add_f16_e32 v72, v140, v79
	v_sub_f16_e32 v136, v142, v138
	v_add_f16_e32 v143, v1, v73
	v_sub_f16_e32 v144, v78, v135
	v_sub_f16_e32 v1, v73, v1
	v_add_f16_e32 v73, v135, v78
	v_sub_f16_e32 v78, v79, v140
	v_add_f16_e32 v79, v138, v142
	v_add_f16_e32 v135, v139, v85
	;; [unrolled: 1-line block ×3, first 2 shown]
	v_sub_f16_e32 v85, v139, v85
	v_sub_f16_e32 v4, v4, v56
	v_add_f16_e32 v56, v81, v74
	v_add_f16_e32 v139, v5, v55
	v_sub_f16_e32 v74, v81, v74
	v_sub_f16_e32 v5, v5, v55
	v_add_f16_e32 v55, v70, v83
	v_add_f16_e32 v81, v6, v7
	v_sub_f16_e32 v70, v83, v70
	v_sub_f16_e32 v6, v7, v6
	v_add_f16_e32 v7, v56, v135
	v_add_f16_e32 v83, v139, v138
	v_sub_f16_e32 v146, v141, v69
	v_add_f16_e32 v147, v3, v145
	v_add_f16_e32 v69, v69, v141
	v_sub_f16_e32 v3, v145, v3
	v_sub_f16_e32 v140, v56, v135
	;; [unrolled: 1-line block ×7, first 2 shown]
	v_add_f16_e32 v142, v70, v74
	v_add_f16_e32 v145, v6, v5
	v_sub_f16_e32 v148, v70, v74
	v_sub_f16_e32 v149, v6, v5
	;; [unrolled: 1-line block ×4, first 2 shown]
	v_add_f16_e32 v7, v55, v7
	v_add_f16_e32 v55, v81, v83
	v_sub_f16_e32 v70, v85, v70
	v_sub_f16_e32 v6, v4, v6
	v_add_f16_e32 v81, v142, v85
	v_add_f16_e32 v4, v145, v4
	;; [unrolled: 1-line block ×3, first 2 shown]
	v_add_f16_sdwa v76, v76, v55 dst_sel:DWORD dst_unused:UNUSED_PAD src0_sel:WORD_1 src1_sel:DWORD
	v_mul_f16_e32 v85, 0x3a52, v135
	v_mul_f16_e32 v135, 0x3a52, v138
	v_mul_f16_e32 v138, 0x2b26, v56
	v_mul_f16_e32 v142, 0x2b26, v139
	v_mul_f16_e32 v145, 0x3846, v148
	v_mul_f16_e32 v148, 0x3846, v149
	v_mul_f16_e32 v149, 0xbb00, v74
	v_mul_f16_e32 v150, 0xbb00, v5
	v_fma_f16 v7, v7, s4, v83
	v_fma_f16 v55, v55, s4, v76
	;; [unrolled: 1-line block ×4, first 2 shown]
	v_fma_f16 v138, v140, s5, -v138
	v_fma_f16 v142, v141, s5, -v142
	;; [unrolled: 1-line block ×4, first 2 shown]
	v_fma_f16 v140, v70, s14, v145
	v_fma_f16 v141, v6, s14, v148
	v_fma_f16 v5, v5, s2, -v148
	v_fma_f16 v70, v70, s15, -v149
	;; [unrolled: 1-line block ×4, first 2 shown]
	v_add_f16_e32 v56, v56, v7
	v_add_f16_e32 v139, v139, v55
	v_add_f16_e32 v138, v138, v7
	v_add_f16_e32 v142, v142, v55
	v_add_f16_e32 v7, v85, v7
	v_add_f16_e32 v55, v135, v55
	v_fma_f16 v85, v81, s12, v140
	v_fma_f16 v135, v4, s12, v141
	v_fma_f16 v5, v4, s12, v5
	v_fma_f16 v70, v81, s12, v70
	v_fma_f16 v4, v4, s12, v6
	v_fma_f16 v74, v81, s12, v74
	v_add_f16_e32 v6, v135, v56
	v_sub_f16_e32 v81, v139, v85
	v_add_f16_e32 v140, v4, v7
	v_sub_f16_e32 v141, v55, v70
	v_sub_f16_e32 v4, v7, v4
	v_add_f16_e32 v7, v70, v55
	v_sub_f16_e32 v55, v56, v135
	v_add_f16_e32 v56, v85, v139
	v_add_f16_e32 v70, v80, v86
	;; [unrolled: 1-line block ×3, first 2 shown]
	v_sub_f16_e32 v80, v80, v86
	v_sub_f16_e32 v12, v12, v58
	v_add_f16_e32 v58, v82, v89
	v_add_f16_e32 v86, v13, v57
	v_sub_f16_e32 v82, v82, v89
	v_sub_f16_e32 v13, v13, v57
	v_add_f16_e32 v57, v87, v84
	v_add_f16_e32 v89, v14, v15
	;; [unrolled: 4-line block ×3, first 2 shown]
	v_sub_f16_e32 v145, v138, v5
	v_add_f16_e32 v148, v74, v142
	v_add_f16_e32 v5, v5, v138
	v_sub_f16_e32 v74, v142, v74
	v_sub_f16_e32 v135, v58, v70
	;; [unrolled: 1-line block ×7, first 2 shown]
	v_add_f16_e32 v139, v84, v82
	v_add_f16_e32 v142, v14, v13
	v_sub_f16_e32 v149, v84, v82
	v_sub_f16_e32 v150, v14, v13
	;; [unrolled: 1-line block ×4, first 2 shown]
	v_add_f16_e32 v15, v57, v15
	v_add_f16_e32 v57, v89, v87
	v_sub_f16_e32 v84, v80, v84
	v_sub_f16_e32 v14, v12, v14
	v_add_f16_e32 v80, v139, v80
	v_add_f16_e32 v12, v142, v12
	;; [unrolled: 1-line block ×3, first 2 shown]
	v_add_f16_sdwa v89, v91, v57 dst_sel:DWORD dst_unused:UNUSED_PAD src0_sel:WORD_1 src1_sel:DWORD
	v_mul_f16_e32 v70, 0x3a52, v70
	v_mul_f16_e32 v85, 0x3a52, v85
	;; [unrolled: 1-line block ×8, first 2 shown]
	v_fma_f16 v15, v15, s4, v87
	v_fma_f16 v57, v57, s4, v89
	v_fma_f16 v58, v58, s3, v70
	v_fma_f16 v86, v86, s3, v85
	v_fma_f16 v91, v135, s5, -v91
	v_fma_f16 v139, v138, s5, -v139
	;; [unrolled: 1-line block ×4, first 2 shown]
	v_fma_f16 v135, v84, s14, v142
	v_fma_f16 v138, v14, s14, v149
	v_fma_f16 v82, v82, s2, -v142
	v_fma_f16 v13, v13, s2, -v149
	v_fma_f16 v84, v84, s15, -v150
	v_fma_f16 v14, v14, s15, -v151
	v_add_f16_e32 v58, v58, v15
	v_add_f16_e32 v86, v86, v57
	;; [unrolled: 1-line block ×6, first 2 shown]
	v_fma_f16 v70, v80, s12, v135
	v_fma_f16 v85, v12, s12, v138
	;; [unrolled: 1-line block ×6, first 2 shown]
	v_add_f16_e32 v14, v85, v58
	v_sub_f16_e32 v84, v86, v70
	v_add_f16_e32 v135, v12, v15
	v_sub_f16_e32 v138, v57, v80
	v_sub_f16_e32 v12, v15, v12
	v_add_f16_e32 v15, v80, v57
	v_sub_f16_e32 v57, v58, v85
	v_add_f16_e32 v58, v70, v86
	v_add_f16_e32 v70, v93, v133
	v_add_f16_e32 v80, v8, v60
	v_sub_f16_e32 v8, v8, v60
	v_add_f16_e32 v60, v129, v90
	v_add_f16_e32 v86, v9, v59
	v_sub_f16_e32 v142, v91, v13
	v_add_f16_e32 v13, v13, v91
	v_sub_f16_e32 v85, v93, v133
	v_sub_f16_e32 v90, v129, v90
	;; [unrolled: 1-line block ×3, first 2 shown]
	v_add_f16_e32 v59, v88, v131
	v_add_f16_e32 v91, v10, v11
	v_sub_f16_e32 v88, v131, v88
	v_sub_f16_e32 v10, v11, v10
	v_add_f16_e32 v11, v60, v70
	v_add_f16_e32 v93, v86, v80
	;; [unrolled: 1-line block ×3, first 2 shown]
	v_sub_f16_e32 v82, v139, v82
	v_sub_f16_e32 v129, v60, v70
	;; [unrolled: 1-line block ×7, first 2 shown]
	v_add_f16_e32 v133, v88, v90
	v_add_f16_e32 v139, v10, v9
	v_sub_f16_e32 v150, v88, v90
	v_sub_f16_e32 v151, v10, v9
	;; [unrolled: 1-line block ×4, first 2 shown]
	v_add_f16_e32 v11, v59, v11
	v_add_f16_e32 v59, v91, v93
	v_sub_f16_e32 v88, v85, v88
	v_sub_f16_e32 v10, v8, v10
	v_add_f16_e32 v85, v133, v85
	v_add_f16_e32 v8, v139, v8
	;; [unrolled: 1-line block ×3, first 2 shown]
	v_add_f16_sdwa v92, v92, v59 dst_sel:DWORD dst_unused:UNUSED_PAD src0_sel:WORD_1 src1_sel:DWORD
	v_mul_f16_e32 v70, 0x3a52, v70
	v_mul_f16_e32 v80, 0x3a52, v80
	v_mul_f16_e32 v93, 0x2b26, v60
	v_mul_f16_e32 v133, 0x2b26, v86
	v_mul_f16_e32 v139, 0x3846, v150
	v_mul_f16_e32 v150, 0x3846, v151
	v_mul_f16_e32 v151, 0xbb00, v90
	v_mul_f16_e32 v152, 0xbb00, v9
	v_fma_f16 v11, v11, s4, v91
	v_fma_f16 v59, v59, s4, v92
	v_fma_f16 v60, v60, s3, v70
	v_fma_f16 v86, v86, s3, v80
	v_fma_f16 v93, v129, s5, -v93
	v_fma_f16 v133, v131, s5, -v133
	;; [unrolled: 1-line block ×4, first 2 shown]
	v_fma_f16 v129, v88, s14, v139
	v_fma_f16 v131, v10, s14, v150
	v_fma_f16 v90, v90, s2, -v139
	v_fma_f16 v9, v9, s2, -v150
	;; [unrolled: 1-line block ×4, first 2 shown]
	v_add_f16_e32 v60, v60, v11
	v_add_f16_e32 v86, v86, v59
	;; [unrolled: 1-line block ×6, first 2 shown]
	v_fma_f16 v70, v85, s12, v129
	v_fma_f16 v80, v8, s12, v131
	;; [unrolled: 1-line block ×6, first 2 shown]
	v_add_f16_e32 v10, v80, v60
	v_sub_f16_e32 v88, v86, v70
	v_add_f16_e32 v129, v8, v11
	v_sub_f16_e32 v131, v59, v85
	v_sub_f16_e32 v8, v11, v8
	v_add_f16_e32 v11, v85, v59
	v_sub_f16_e32 v59, v60, v80
	v_add_f16_e32 v60, v70, v86
	v_add_f16_e32 v70, v94, v134
	;; [unrolled: 1-line block ×3, first 2 shown]
	v_sub_f16_e32 v16, v16, v62
	v_add_f16_e32 v62, v130, v77
	v_add_f16_e32 v86, v17, v61
	v_sub_f16_e32 v139, v93, v9
	v_add_f16_e32 v9, v9, v93
	v_sub_f16_e32 v85, v94, v134
	v_sub_f16_e32 v77, v130, v77
	v_sub_f16_e32 v17, v17, v61
	v_add_f16_e32 v61, v71, v132
	v_add_f16_e32 v93, v18, v19
	v_sub_f16_e32 v71, v132, v71
	v_sub_f16_e32 v18, v19, v18
	v_add_f16_e32 v19, v62, v70
	v_add_f16_e32 v94, v86, v80
	;; [unrolled: 1-line block ×3, first 2 shown]
	v_sub_f16_e32 v90, v133, v90
	v_sub_f16_e32 v130, v62, v70
	v_sub_f16_e32 v132, v86, v80
	v_sub_f16_e32 v70, v70, v61
	v_sub_f16_e32 v80, v80, v93
	v_sub_f16_e32 v62, v61, v62
	v_sub_f16_e32 v86, v93, v86
	v_add_f16_e32 v133, v71, v77
	v_add_f16_e32 v134, v18, v17
	v_sub_f16_e32 v151, v71, v77
	v_sub_f16_e32 v152, v18, v17
	v_sub_f16_e32 v77, v77, v85
	v_sub_f16_e32 v17, v17, v16
	v_add_f16_e32 v19, v61, v19
	v_add_f16_e32 v61, v93, v94
	v_sub_f16_e32 v71, v85, v71
	v_sub_f16_e32 v18, v16, v18
	v_add_f16_e32 v85, v133, v85
	v_add_f16_e32 v16, v134, v16
	;; [unrolled: 1-line block ×3, first 2 shown]
	v_add_f16_sdwa v0, v0, v61 dst_sel:DWORD dst_unused:UNUSED_PAD src0_sel:WORD_1 src1_sel:DWORD
	v_mul_f16_e32 v70, 0x3a52, v70
	v_mul_f16_e32 v80, 0x3a52, v80
	;; [unrolled: 1-line block ×8, first 2 shown]
	v_fma_f16 v19, v19, s4, v93
	v_fma_f16 v61, v61, s4, v0
	;; [unrolled: 1-line block ×4, first 2 shown]
	v_fma_f16 v94, v130, s5, -v94
	v_fma_f16 v133, v132, s5, -v133
	;; [unrolled: 1-line block ×4, first 2 shown]
	v_fma_f16 v130, v71, s14, v134
	v_fma_f16 v132, v18, s14, v151
	v_fma_f16 v17, v17, s2, -v151
	v_fma_f16 v71, v71, s15, -v152
	;; [unrolled: 1-line block ×4, first 2 shown]
	v_add_f16_e32 v62, v62, v19
	v_add_f16_e32 v86, v86, v61
	;; [unrolled: 1-line block ×6, first 2 shown]
	v_fma_f16 v70, v85, s12, v130
	v_fma_f16 v80, v16, s12, v132
	;; [unrolled: 1-line block ×6, first 2 shown]
	v_add_f16_e32 v18, v80, v62
	v_sub_f16_e32 v85, v86, v70
	v_add_f16_e32 v130, v16, v19
	v_sub_f16_e32 v132, v61, v71
	v_sub_f16_e32 v16, v19, v16
	v_add_f16_e32 v19, v71, v61
	v_sub_f16_e32 v61, v62, v80
	v_add_f16_e32 v62, v70, v86
	v_pack_b32_f16 v70, v137, v75
	v_pack_b32_f16 v71, v72, v136
	;; [unrolled: 1-line block ×4, first 2 shown]
	s_waitcnt lgkmcnt(0)
	; wave barrier
	ds_write2_b32 v95, v70, v71 offset1:56
	v_pack_b32_f16 v70, v143, v144
	v_pack_b32_f16 v71, v146, v147
	ds_write2_b32 v66, v3, v1 offset0:96 offset1:152
	v_pack_b32_f16 v1, v78, v79
	v_pack_b32_f16 v3, v83, v76
	ds_write2_b32 v95, v70, v71 offset0:112 offset1:168
	ds_write2_b32 v63, v1, v3 offset0:80 offset1:136
	v_pack_b32_f16 v1, v6, v81
	v_pack_b32_f16 v3, v140, v141
	ds_write2_b32 v63, v1, v3 offset0:192 offset1:248
	v_pack_b32_f16 v1, v145, v148
	v_pack_b32_f16 v3, v5, v74
	;; [unrolled: 3-line block ×4, first 2 shown]
	v_add_u32_e32 v4, 0xc00, v178
	ds_write2_b32 v4, v1, v3 offset0:16 offset1:72
	v_pack_b32_f16 v1, v135, v138
	v_pack_b32_f16 v3, v142, v149
	ds_write2_b32 v4, v1, v3 offset0:128 offset1:184
	v_pack_b32_f16 v1, v13, v82
	v_pack_b32_f16 v3, v12, v15
	v_add_u32_e32 v4, 0xe00, v178
	ds_write2_b32 v4, v1, v3 offset0:112 offset1:168
	v_pack_b32_f16 v1, v57, v58
	ds_write_b32 v178, v1 offset:4480
	v_pack_b32_f16 v1, v91, v92
	v_pack_b32_f16 v3, v10, v88
	v_add_u32_e32 v4, 0x1000, v179
	ds_write2_b32 v4, v1, v3 offset0:152 offset1:208
	v_pack_b32_f16 v1, v129, v131
	v_pack_b32_f16 v3, v139, v150
	v_add_u32_e32 v4, 0x1400, v179
	ds_write2_b32 v4, v1, v3 offset0:8 offset1:64
	v_pack_b32_f16 v1, v9, v90
	v_pack_b32_f16 v3, v8, v11
	ds_write2_b32 v4, v1, v3 offset0:120 offset1:176
	v_pack_b32_f16 v1, v59, v60
	v_sub_f16_e32 v134, v94, v17
	v_add_f16_e32 v151, v77, v133
	ds_write_b32 v179, v1 offset:6048
	v_pack_b32_f16 v0, v93, v0
	v_pack_b32_f16 v1, v18, v85
	v_add_u32_e32 v3, 0x1800, v180
	v_add_f16_e32 v17, v17, v94
	v_sub_f16_e32 v77, v133, v77
	ds_write2_b32 v3, v0, v1 offset0:32 offset1:88
	v_pack_b32_f16 v0, v130, v132
	v_pack_b32_f16 v1, v134, v151
	ds_write2_b32 v3, v0, v1 offset0:144 offset1:200
	v_pack_b32_f16 v0, v17, v77
	v_pack_b32_f16 v1, v16, v19
	v_add_u32_e32 v3, 0x1c00, v180
	ds_write2_b32 v3, v0, v1 offset1:56
	v_pack_b32_f16 v0, v61, v62
	ds_write_b32 v180, v0 offset:7616
	s_waitcnt lgkmcnt(0)
	; wave barrier
	s_waitcnt lgkmcnt(0)
	ds_read2_b32 v[3:4], v95 offset1:56
	ds_read2_b32 v[0:1], v63 offset0:80 offset1:136
	ds_read2_b32 v[5:6], v54 offset0:16 offset1:72
	;; [unrolled: 1-line block ×6, first 2 shown]
	s_waitcnt lgkmcnt(5)
	v_lshrrev_b32_e32 v77, 16, v1
	v_mul_f16_sdwa v145, v20, v77 dst_sel:DWORD dst_unused:UNUSED_PAD src0_sel:WORD_1 src1_sel:DWORD
	s_waitcnt lgkmcnt(4)
	v_lshrrev_b32_e32 v78, 16, v5
	v_fma_f16 v145, v20, v1, v145
	v_mul_f16_sdwa v1, v20, v1 dst_sel:DWORD dst_unused:UNUSED_PAD src0_sel:WORD_1 src1_sel:DWORD
	v_fma_f16 v1, v20, v77, -v1
	v_mul_f16_sdwa v20, v21, v78 dst_sel:DWORD dst_unused:UNUSED_PAD src0_sel:WORD_1 src1_sel:DWORD
	s_waitcnt lgkmcnt(3)
	v_lshrrev_b32_e32 v79, 16, v8
	v_fma_f16 v20, v21, v5, v20
	v_mul_f16_sdwa v5, v21, v5 dst_sel:DWORD dst_unused:UNUSED_PAD src0_sel:WORD_1 src1_sel:DWORD
	v_fma_f16 v5, v21, v78, -v5
	;; [unrolled: 6-line block ×4, first 2 shown]
	v_mul_f16_sdwa v23, v24, v81 dst_sel:DWORD dst_unused:UNUSED_PAD src0_sel:WORD_1 src1_sel:DWORD
	v_lshrrev_b32_e32 v82, 16, v6
	v_fma_f16 v23, v24, v11, v23
	v_mul_f16_sdwa v11, v24, v11 dst_sel:DWORD dst_unused:UNUSED_PAD src0_sel:WORD_1 src1_sel:DWORD
	v_fma_f16 v11, v24, v81, -v11
	v_mul_f16_sdwa v24, v25, v82 dst_sel:DWORD dst_unused:UNUSED_PAD src0_sel:WORD_1 src1_sel:DWORD
	s_waitcnt lgkmcnt(0)
	v_lshrrev_b32_e32 v83, 16, v13
	v_fma_f16 v24, v25, v6, v24
	v_mul_f16_sdwa v6, v25, v6 dst_sel:DWORD dst_unused:UNUSED_PAD src0_sel:WORD_1 src1_sel:DWORD
	ds_read2_b32 v[17:18], v54 offset0:128 offset1:184
	v_fma_f16 v6, v25, v82, -v6
	v_mul_f16_sdwa v25, v26, v83 dst_sel:DWORD dst_unused:UNUSED_PAD src0_sel:WORD_1 src1_sel:DWORD
	v_lshrrev_b32_e32 v84, 16, v10
	v_fma_f16 v25, v26, v13, v25
	v_mul_f16_sdwa v13, v26, v13 dst_sel:DWORD dst_unused:UNUSED_PAD src0_sel:WORD_1 src1_sel:DWORD
	v_fma_f16 v13, v26, v83, -v13
	v_mul_f16_sdwa v26, v27, v84 dst_sel:DWORD dst_unused:UNUSED_PAD src0_sel:WORD_1 src1_sel:DWORD
	v_lshrrev_b32_e32 v86, 16, v12
	v_fma_f16 v26, v27, v10, v26
	v_mul_f16_sdwa v10, v27, v10 dst_sel:DWORD dst_unused:UNUSED_PAD src0_sel:WORD_1 src1_sel:DWORD
	ds_read2_b32 v[55:56], v64 offset0:144 offset1:200
	v_fma_f16 v10, v27, v84, -v10
	v_mul_f16_sdwa v27, v28, v86 dst_sel:DWORD dst_unused:UNUSED_PAD src0_sel:WORD_1 src1_sel:DWORD
	s_waitcnt lgkmcnt(1)
	v_lshrrev_b32_e32 v87, 16, v17
	v_fma_f16 v27, v28, v12, v27
	v_mul_f16_sdwa v12, v28, v12 dst_sel:DWORD dst_unused:UNUSED_PAD src0_sel:WORD_1 src1_sel:DWORD
	ds_read2_b32 v[57:58], v67 offset0:48 offset1:104
	v_fma_f16 v12, v28, v86, -v12
	v_mul_f16_sdwa v28, v29, v87 dst_sel:DWORD dst_unused:UNUSED_PAD src0_sel:WORD_1 src1_sel:DWORD
	v_lshrrev_b32_e32 v88, 16, v14
	v_fma_f16 v28, v29, v17, v28
	v_mul_f16_sdwa v17, v29, v17 dst_sel:DWORD dst_unused:UNUSED_PAD src0_sel:WORD_1 src1_sel:DWORD
	v_fma_f16 v17, v29, v87, -v17
	v_mul_f16_sdwa v29, v30, v88 dst_sel:DWORD dst_unused:UNUSED_PAD src0_sel:WORD_1 src1_sel:DWORD
	s_waitcnt lgkmcnt(1)
	v_lshrrev_b32_e32 v89, 16, v55
	v_fma_f16 v29, v30, v14, v29
	v_mul_f16_sdwa v14, v30, v14 dst_sel:DWORD dst_unused:UNUSED_PAD src0_sel:WORD_1 src1_sel:DWORD
	ds_read2_b32 v[59:60], v53 offset0:64 offset1:120
	v_fma_f16 v14, v30, v88, -v14
	v_mul_f16_sdwa v30, v31, v89 dst_sel:DWORD dst_unused:UNUSED_PAD src0_sel:WORD_1 src1_sel:DWORD
	s_waitcnt lgkmcnt(1)
	v_lshrrev_b32_e32 v91, 16, v57
	v_fma_f16 v30, v31, v55, v30
	v_mul_f16_sdwa v55, v31, v55 dst_sel:DWORD dst_unused:UNUSED_PAD src0_sel:WORD_1 src1_sel:DWORD
	v_fma_f16 v31, v31, v89, -v55
	v_mul_f16_sdwa v55, v32, v91 dst_sel:DWORD dst_unused:UNUSED_PAD src0_sel:WORD_1 src1_sel:DWORD
	v_lshrrev_b32_e32 v92, 16, v18
	v_fma_f16 v55, v32, v57, v55
	v_mul_f16_sdwa v57, v32, v57 dst_sel:DWORD dst_unused:UNUSED_PAD src0_sel:WORD_1 src1_sel:DWORD
	v_fma_f16 v32, v32, v91, -v57
	v_mul_f16_sdwa v57, v33, v92 dst_sel:DWORD dst_unused:UNUSED_PAD src0_sel:WORD_1 src1_sel:DWORD
	s_waitcnt lgkmcnt(0)
	v_lshrrev_b32_e32 v93, 16, v59
	v_fma_f16 v57, v33, v18, v57
	v_mul_f16_sdwa v18, v33, v18 dst_sel:DWORD dst_unused:UNUSED_PAD src0_sel:WORD_1 src1_sel:DWORD
	ds_read2_b32 v[69:70], v68 offset0:112 offset1:168
	v_fma_f16 v18, v33, v92, -v18
	v_mul_f16_sdwa v33, v34, v93 dst_sel:DWORD dst_unused:UNUSED_PAD src0_sel:WORD_1 src1_sel:DWORD
	v_lshrrev_b32_e32 v94, 16, v56
	v_fma_f16 v33, v34, v59, v33
	v_mul_f16_sdwa v59, v34, v59 dst_sel:DWORD dst_unused:UNUSED_PAD src0_sel:WORD_1 src1_sel:DWORD
	v_fma_f16 v34, v34, v93, -v59
	v_mul_f16_sdwa v59, v35, v94 dst_sel:DWORD dst_unused:UNUSED_PAD src0_sel:WORD_1 src1_sel:DWORD
	v_lshrrev_b32_e32 v130, 16, v58
	v_fma_f16 v59, v35, v56, v59
	v_mul_f16_sdwa v56, v35, v56 dst_sel:DWORD dst_unused:UNUSED_PAD src0_sel:WORD_1 src1_sel:DWORD
	ds_read2_b32 v[71:72], v49 offset1:56
	v_fma_f16 v35, v35, v94, -v56
	v_mul_f16_sdwa v56, v36, v130 dst_sel:DWORD dst_unused:UNUSED_PAD src0_sel:WORD_1 src1_sel:DWORD
	s_waitcnt lgkmcnt(1)
	v_lshrrev_b32_e32 v131, 16, v69
	v_fma_f16 v56, v36, v58, v56
	v_mul_f16_sdwa v58, v36, v58 dst_sel:DWORD dst_unused:UNUSED_PAD src0_sel:WORD_1 src1_sel:DWORD
	ds_read2_b32 v[73:74], v67 offset0:160 offset1:216
	v_fma_f16 v36, v36, v130, -v58
	v_mul_f16_sdwa v58, v37, v131 dst_sel:DWORD dst_unused:UNUSED_PAD src0_sel:WORD_1 src1_sel:DWORD
	v_lshrrev_b32_e32 v132, 16, v60
	v_fma_f16 v58, v37, v69, v58
	v_mul_f16_sdwa v69, v37, v69 dst_sel:DWORD dst_unused:UNUSED_PAD src0_sel:WORD_1 src1_sel:DWORD
	v_fma_f16 v37, v37, v131, -v69
	v_mul_f16_sdwa v69, v38, v132 dst_sel:DWORD dst_unused:UNUSED_PAD src0_sel:WORD_1 src1_sel:DWORD
	s_waitcnt lgkmcnt(1)
	v_lshrrev_b32_e32 v133, 16, v71
	v_fma_f16 v69, v38, v60, v69
	v_mul_f16_sdwa v60, v38, v60 dst_sel:DWORD dst_unused:UNUSED_PAD src0_sel:WORD_1 src1_sel:DWORD
	ds_read2_b32 v[75:76], v53 offset0:176 offset1:232
	v_fma_f16 v38, v38, v132, -v60
	v_mul_f16_sdwa v60, v39, v133 dst_sel:DWORD dst_unused:UNUSED_PAD src0_sel:WORD_1 src1_sel:DWORD
	s_waitcnt lgkmcnt(1)
	v_lshrrev_b32_e32 v135, 16, v73
	v_fma_f16 v60, v39, v71, v60
	v_mul_f16_sdwa v71, v39, v71 dst_sel:DWORD dst_unused:UNUSED_PAD src0_sel:WORD_1 src1_sel:DWORD
	v_fma_f16 v39, v39, v133, -v71
	v_mul_f16_sdwa v71, v40, v135 dst_sel:DWORD dst_unused:UNUSED_PAD src0_sel:WORD_1 src1_sel:DWORD
	v_lshrrev_b32_e32 v136, 16, v70
	v_fma_f16 v71, v40, v73, v71
	v_mul_f16_sdwa v73, v40, v73 dst_sel:DWORD dst_unused:UNUSED_PAD src0_sel:WORD_1 src1_sel:DWORD
	v_fma_f16 v40, v40, v135, -v73
	v_mul_f16_sdwa v73, v41, v136 dst_sel:DWORD dst_unused:UNUSED_PAD src0_sel:WORD_1 src1_sel:DWORD
	s_waitcnt lgkmcnt(0)
	v_lshrrev_b32_e32 v137, 16, v75
	v_fma_f16 v73, v41, v70, v73
	v_mul_f16_sdwa v70, v41, v70 dst_sel:DWORD dst_unused:UNUSED_PAD src0_sel:WORD_1 src1_sel:DWORD
	v_fma_f16 v41, v41, v136, -v70
	v_mul_f16_sdwa v70, v42, v137 dst_sel:DWORD dst_unused:UNUSED_PAD src0_sel:WORD_1 src1_sel:DWORD
	v_lshrrev_b32_e32 v138, 16, v72
	v_fma_f16 v70, v42, v75, v70
	v_mul_f16_sdwa v75, v42, v75 dst_sel:DWORD dst_unused:UNUSED_PAD src0_sel:WORD_1 src1_sel:DWORD
	v_fma_f16 v42, v42, v137, -v75
	v_mul_f16_sdwa v75, v43, v138 dst_sel:DWORD dst_unused:UNUSED_PAD src0_sel:WORD_1 src1_sel:DWORD
	v_lshrrev_b32_e32 v141, 16, v74
	v_fma_f16 v75, v43, v72, v75
	v_mul_f16_sdwa v72, v43, v72 dst_sel:DWORD dst_unused:UNUSED_PAD src0_sel:WORD_1 src1_sel:DWORD
	ds_read_b32 v139, v95 offset:7616
	v_fma_f16 v43, v43, v138, -v72
	v_mul_f16_sdwa v72, v44, v141 dst_sel:DWORD dst_unused:UNUSED_PAD src0_sel:WORD_1 src1_sel:DWORD
	v_lshrrev_b32_e32 v142, 16, v7
	v_fma_f16 v72, v44, v74, v72
	v_mul_f16_sdwa v74, v44, v74 dst_sel:DWORD dst_unused:UNUSED_PAD src0_sel:WORD_1 src1_sel:DWORD
	v_fma_f16 v44, v44, v141, -v74
	v_mul_f16_sdwa v74, v45, v142 dst_sel:DWORD dst_unused:UNUSED_PAD src0_sel:WORD_1 src1_sel:DWORD
	v_lshrrev_b32_e32 v143, 16, v76
	v_fma_f16 v74, v45, v7, v74
	v_mul_f16_sdwa v7, v45, v7 dst_sel:DWORD dst_unused:UNUSED_PAD src0_sel:WORD_1 src1_sel:DWORD
	v_add_f16_e32 v78, v20, v21
	v_fma_f16 v7, v45, v142, -v7
	v_mul_f16_sdwa v45, v46, v143 dst_sel:DWORD dst_unused:UNUSED_PAD src0_sel:WORD_1 src1_sel:DWORD
	v_fma_f16 v78, v78, -0.5, v3
	v_sub_f16_e32 v79, v1, v9
	s_mov_b32 s3, 0xbb9c
	s_movk_i32 s5, 0x3b9c
	s_waitcnt lgkmcnt(0)
	v_lshrrev_b32_e32 v144, 16, v139
	v_fma_f16 v45, v46, v76, v45
	v_mul_f16_sdwa v76, v46, v76 dst_sel:DWORD dst_unused:UNUSED_PAD src0_sel:WORD_1 src1_sel:DWORD
	v_fma_f16 v80, v79, s3, v78
	v_sub_f16_e32 v81, v5, v8
	s_mov_b32 s2, 0xb8b4
	v_sub_f16_e32 v82, v145, v20
	v_sub_f16_e32 v83, v22, v21
	v_fma_f16 v78, v79, s5, v78
	s_movk_i32 s12, 0x38b4
	v_fma_f16 v46, v46, v143, -v76
	v_mul_f16_sdwa v76, v47, v144 dst_sel:DWORD dst_unused:UNUSED_PAD src0_sel:WORD_1 src1_sel:DWORD
	v_mul_f16_sdwa v77, v47, v139 dst_sel:DWORD dst_unused:UNUSED_PAD src0_sel:WORD_1 src1_sel:DWORD
	v_fma_f16 v80, v81, s2, v80
	v_add_f16_e32 v82, v82, v83
	s_movk_i32 s4, 0x34f2
	v_fma_f16 v78, v81, s12, v78
	v_fma_f16 v76, v47, v139, v76
	v_fma_f16 v47, v47, v144, -v77
	v_add_f16_e32 v77, v3, v145
	v_fma_f16 v80, v82, s4, v80
	v_fma_f16 v78, v82, s4, v78
	v_add_f16_e32 v82, v145, v22
	v_lshrrev_b32_e32 v19, 16, v3
	v_add_f16_e32 v77, v77, v20
	v_fma_f16 v3, v82, -0.5, v3
	v_add_f16_e32 v77, v77, v21
	v_fma_f16 v82, v81, s5, v3
	v_sub_f16_e32 v83, v20, v145
	v_sub_f16_e32 v84, v21, v22
	v_fma_f16 v3, v81, s3, v3
	v_add_f16_e32 v81, v5, v8
	v_add_f16_e32 v77, v77, v22
	v_fma_f16 v82, v79, s2, v82
	v_add_f16_e32 v83, v83, v84
	v_fma_f16 v3, v79, s12, v3
	v_fma_f16 v81, v81, -0.5, v19
	v_sub_f16_e32 v22, v145, v22
	v_fma_f16 v82, v83, s4, v82
	v_fma_f16 v3, v83, s4, v3
	;; [unrolled: 1-line block ×3, first 2 shown]
	v_sub_f16_e32 v20, v20, v21
	v_fma_f16 v21, v20, s12, v83
	v_sub_f16_e32 v83, v1, v5
	v_sub_f16_e32 v84, v9, v8
	v_fma_f16 v81, v22, s3, v81
	v_add_f16_e32 v79, v19, v1
	v_add_f16_e32 v83, v83, v84
	v_fma_f16 v81, v20, s2, v81
	v_add_f16_e32 v79, v79, v5
	v_fma_f16 v21, v83, s4, v21
	v_fma_f16 v81, v83, s4, v81
	v_add_f16_e32 v83, v1, v9
	v_add_f16_e32 v79, v79, v8
	v_fma_f16 v19, v83, -0.5, v19
	v_add_f16_e32 v79, v79, v9
	v_fma_f16 v83, v20, s3, v19
	v_sub_f16_e32 v1, v5, v1
	v_sub_f16_e32 v5, v8, v9
	v_add_f16_e32 v9, v24, v25
	v_fma_f16 v83, v22, s12, v83
	v_add_f16_e32 v1, v1, v5
	v_fma_f16 v8, v20, s5, v19
	v_fma_f16 v9, v9, -0.5, v4
	v_sub_f16_e32 v19, v11, v10
	v_fma_f16 v5, v1, s4, v83
	v_fma_f16 v8, v22, s2, v8
	;; [unrolled: 1-line block ×3, first 2 shown]
	v_sub_f16_e32 v22, v6, v13
	v_sub_f16_e32 v83, v23, v24
	;; [unrolled: 1-line block ×3, first 2 shown]
	v_fma_f16 v9, v19, s5, v9
	v_fma_f16 v20, v22, s2, v20
	v_add_f16_e32 v83, v83, v84
	v_fma_f16 v9, v22, s12, v9
	v_fma_f16 v20, v83, s4, v20
	;; [unrolled: 1-line block ×3, first 2 shown]
	v_add_f16_e32 v83, v23, v26
	v_lshrrev_b32_e32 v2, 16, v4
	v_fma_f16 v1, v1, s4, v8
	v_add_f16_e32 v8, v4, v23
	v_fma_f16 v4, v83, -0.5, v4
	v_add_f16_e32 v8, v8, v24
	v_fma_f16 v83, v22, s5, v4
	v_fma_f16 v4, v22, s3, v4
	v_add_f16_e32 v22, v6, v13
	v_add_f16_e32 v8, v8, v25
	v_sub_f16_e32 v84, v24, v23
	v_sub_f16_e32 v86, v25, v26
	v_fma_f16 v22, v22, -0.5, v2
	v_sub_f16_e32 v23, v23, v26
	v_add_f16_e32 v8, v8, v26
	v_fma_f16 v83, v19, s2, v83
	v_add_f16_e32 v84, v84, v86
	v_fma_f16 v4, v19, s12, v4
	v_fma_f16 v26, v23, s5, v22
	v_sub_f16_e32 v24, v24, v25
	ds_read2_b32 v[15:16], v95 offset0:112 offset1:168
	v_fma_f16 v83, v84, s4, v83
	v_fma_f16 v4, v84, s4, v4
	;; [unrolled: 1-line block ×3, first 2 shown]
	v_sub_f16_e32 v26, v11, v6
	v_sub_f16_e32 v84, v10, v13
	v_fma_f16 v22, v23, s3, v22
	v_add_f16_e32 v19, v2, v11
	v_add_f16_e32 v26, v26, v84
	v_fma_f16 v22, v24, s2, v22
	v_add_f16_e32 v19, v19, v6
	v_fma_f16 v25, v26, s4, v25
	v_fma_f16 v22, v26, s4, v22
	v_add_f16_e32 v26, v11, v10
	v_add_f16_e32 v19, v19, v13
	v_fma_f16 v2, v26, -0.5, v2
	v_add_f16_e32 v19, v19, v10
	v_fma_f16 v26, v24, s3, v2
	v_sub_f16_e32 v6, v6, v11
	v_sub_f16_e32 v10, v13, v10
	v_add_f16_e32 v11, v28, v29
	v_fma_f16 v26, v23, s12, v26
	v_add_f16_e32 v6, v6, v10
	v_fma_f16 v2, v24, s5, v2
	s_waitcnt lgkmcnt(0)
	v_fma_f16 v11, v11, -0.5, v15
	v_sub_f16_e32 v13, v12, v31
	v_fma_f16 v10, v6, s4, v26
	v_fma_f16 v2, v23, s2, v2
	;; [unrolled: 1-line block ×3, first 2 shown]
	v_sub_f16_e32 v24, v17, v14
	v_sub_f16_e32 v26, v27, v28
	;; [unrolled: 1-line block ×3, first 2 shown]
	v_fma_f16 v11, v13, s5, v11
	v_fma_f16 v23, v24, s2, v23
	v_add_f16_e32 v26, v26, v84
	v_fma_f16 v11, v24, s12, v11
	v_fma_f16 v23, v26, s4, v23
	;; [unrolled: 1-line block ×3, first 2 shown]
	v_add_f16_e32 v26, v27, v30
	v_lshrrev_b32_e32 v85, 16, v15
	v_fma_f16 v2, v6, s4, v2
	v_add_f16_e32 v6, v15, v27
	v_fma_f16 v15, v26, -0.5, v15
	v_add_f16_e32 v6, v6, v28
	v_fma_f16 v26, v24, s5, v15
	v_fma_f16 v15, v24, s3, v15
	v_add_f16_e32 v24, v17, v14
	v_add_f16_e32 v6, v6, v29
	v_sub_f16_e32 v84, v28, v27
	v_sub_f16_e32 v86, v29, v30
	v_fma_f16 v24, v24, -0.5, v85
	v_sub_f16_e32 v27, v27, v30
	v_add_f16_e32 v6, v6, v30
	v_fma_f16 v26, v13, s2, v26
	v_add_f16_e32 v84, v84, v86
	v_fma_f16 v13, v13, s12, v15
	v_fma_f16 v30, v27, s5, v24
	v_sub_f16_e32 v28, v28, v29
	v_fma_f16 v26, v84, s4, v26
	v_fma_f16 v13, v84, s4, v13
	;; [unrolled: 1-line block ×3, first 2 shown]
	v_sub_f16_e32 v30, v12, v17
	v_sub_f16_e32 v84, v31, v14
	v_fma_f16 v24, v27, s3, v24
	v_add_f16_e32 v30, v30, v84
	v_fma_f16 v24, v28, s2, v24
	v_fma_f16 v29, v30, s4, v29
	;; [unrolled: 1-line block ×3, first 2 shown]
	v_add_f16_e32 v30, v12, v31
	v_add_f16_e32 v15, v85, v12
	v_fma_f16 v30, v30, -0.5, v85
	v_add_f16_e32 v15, v15, v17
	v_fma_f16 v84, v28, s3, v30
	v_sub_f16_e32 v12, v17, v12
	v_fma_f16 v17, v28, s5, v30
	v_add_f16_e32 v15, v15, v14
	v_fma_f16 v84, v27, s12, v84
	v_sub_f16_e32 v14, v14, v31
	v_fma_f16 v17, v27, s2, v17
	v_add_f16_e32 v27, v57, v33
	v_add_f16_e32 v12, v12, v14
	v_fma_f16 v27, v27, -0.5, v16
	v_sub_f16_e32 v28, v32, v35
	v_add_f16_e32 v15, v15, v31
	v_fma_f16 v14, v12, s4, v84
	v_fma_f16 v30, v28, s3, v27
	v_sub_f16_e32 v31, v18, v34
	v_sub_f16_e32 v84, v55, v57
	;; [unrolled: 1-line block ×3, first 2 shown]
	v_fma_f16 v27, v28, s5, v27
	v_fma_f16 v30, v31, s2, v30
	v_add_f16_e32 v84, v84, v85
	v_fma_f16 v27, v31, s12, v27
	v_fma_f16 v30, v84, s4, v30
	;; [unrolled: 1-line block ×3, first 2 shown]
	v_add_f16_e32 v84, v55, v59
	v_lshrrev_b32_e32 v90, 16, v16
	v_fma_f16 v12, v12, s4, v17
	v_add_f16_e32 v17, v16, v55
	v_fma_f16 v16, v84, -0.5, v16
	v_add_f16_e32 v17, v17, v57
	v_fma_f16 v84, v31, s5, v16
	v_fma_f16 v16, v31, s3, v16
	v_add_f16_e32 v31, v18, v34
	v_add_f16_e32 v17, v17, v33
	v_sub_f16_e32 v85, v57, v55
	v_sub_f16_e32 v86, v33, v59
	v_fma_f16 v31, v31, -0.5, v90
	v_sub_f16_e32 v55, v55, v59
	v_add_f16_e32 v17, v17, v59
	v_fma_f16 v84, v28, s2, v84
	v_add_f16_e32 v85, v85, v86
	v_fma_f16 v16, v28, s12, v16
	v_fma_f16 v59, v55, s5, v31
	v_sub_f16_e32 v33, v57, v33
	ds_read2_b32 v[61:62], v66 offset0:96 offset1:152
	v_fma_f16 v84, v85, s4, v84
	v_fma_f16 v16, v85, s4, v16
	;; [unrolled: 1-line block ×3, first 2 shown]
	v_sub_f16_e32 v59, v32, v18
	v_sub_f16_e32 v85, v35, v34
	v_fma_f16 v31, v55, s3, v31
	v_add_f16_e32 v59, v59, v85
	v_fma_f16 v31, v33, s2, v31
	v_add_f16_e32 v28, v90, v32
	v_fma_f16 v57, v59, s4, v57
	v_fma_f16 v31, v59, s4, v31
	v_add_f16_e32 v59, v32, v35
	v_add_f16_e32 v28, v28, v18
	v_fma_f16 v59, v59, -0.5, v90
	v_add_f16_e32 v28, v28, v34
	v_fma_f16 v85, v33, s3, v59
	v_sub_f16_e32 v18, v18, v32
	v_sub_f16_e32 v32, v34, v35
	v_add_f16_e32 v34, v58, v69
	v_add_f16_e32 v28, v28, v35
	v_fma_f16 v85, v55, s12, v85
	v_add_f16_e32 v18, v18, v32
	v_fma_f16 v33, v33, s5, v59
	s_waitcnt lgkmcnt(0)
	v_fma_f16 v34, v34, -0.5, v61
	v_sub_f16_e32 v35, v36, v39
	v_fma_f16 v32, v18, s4, v85
	v_fma_f16 v33, v55, s2, v33
	;; [unrolled: 1-line block ×3, first 2 shown]
	v_sub_f16_e32 v59, v37, v38
	v_sub_f16_e32 v85, v56, v58
	v_sub_f16_e32 v86, v60, v69
	v_fma_f16 v34, v35, s5, v34
	v_fma_f16 v55, v59, s2, v55
	v_add_f16_e32 v85, v85, v86
	v_fma_f16 v34, v59, s12, v34
	v_fma_f16 v55, v85, s4, v55
	;; [unrolled: 1-line block ×3, first 2 shown]
	v_add_f16_e32 v85, v56, v60
	v_lshrrev_b32_e32 v129, 16, v61
	v_fma_f16 v18, v18, s4, v33
	v_add_f16_e32 v33, v61, v56
	v_fma_f16 v61, v85, -0.5, v61
	v_add_f16_e32 v33, v33, v58
	v_fma_f16 v85, v59, s5, v61
	v_sub_f16_e32 v86, v58, v56
	v_sub_f16_e32 v87, v69, v60
	v_fma_f16 v59, v59, s3, v61
	v_add_f16_e32 v61, v37, v38
	v_add_f16_e32 v33, v33, v69
	v_fma_f16 v85, v35, s2, v85
	v_add_f16_e32 v86, v86, v87
	v_fma_f16 v35, v35, s12, v59
	v_fma_f16 v61, v61, -0.5, v129
	v_sub_f16_e32 v56, v56, v60
	v_add_f16_e32 v33, v33, v60
	v_fma_f16 v85, v86, s4, v85
	v_fma_f16 v35, v86, s4, v35
	;; [unrolled: 1-line block ×3, first 2 shown]
	v_sub_f16_e32 v58, v58, v69
	v_sub_f16_e32 v69, v36, v37
	;; [unrolled: 1-line block ×3, first 2 shown]
	v_fma_f16 v61, v56, s3, v61
	v_add_f16_e32 v59, v129, v36
	v_fma_f16 v60, v58, s12, v60
	v_add_f16_e32 v69, v69, v86
	;; [unrolled: 2-line block ×3, first 2 shown]
	v_fma_f16 v60, v69, s4, v60
	v_fma_f16 v61, v69, s4, v61
	v_add_f16_e32 v69, v36, v39
	v_add_f16_e32 v59, v59, v38
	v_fma_f16 v69, v69, -0.5, v129
	v_add_f16_e32 v59, v59, v39
	v_fma_f16 v86, v58, s3, v69
	v_sub_f16_e32 v36, v37, v36
	v_sub_f16_e32 v37, v38, v39
	v_fma_f16 v38, v58, s5, v69
	v_add_f16_e32 v39, v73, v70
	v_fma_f16 v86, v56, s12, v86
	v_add_f16_e32 v36, v36, v37
	v_fma_f16 v38, v56, s2, v38
	v_fma_f16 v39, v39, -0.5, v62
	v_sub_f16_e32 v56, v40, v43
	v_fma_f16 v37, v36, s4, v86
	v_fma_f16 v58, v56, s3, v39
	v_sub_f16_e32 v69, v41, v42
	v_sub_f16_e32 v86, v71, v73
	;; [unrolled: 1-line block ×3, first 2 shown]
	v_fma_f16 v39, v56, s5, v39
	v_fma_f16 v58, v69, s2, v58
	v_add_f16_e32 v86, v86, v87
	v_fma_f16 v39, v69, s12, v39
	v_fma_f16 v58, v86, s4, v58
	;; [unrolled: 1-line block ×3, first 2 shown]
	v_add_f16_e32 v86, v71, v75
	v_lshrrev_b32_e32 v134, 16, v62
	v_fma_f16 v36, v36, s4, v38
	v_add_f16_e32 v38, v62, v71
	v_fma_f16 v62, v86, -0.5, v62
	v_add_f16_e32 v38, v38, v73
	v_fma_f16 v86, v69, s5, v62
	v_fma_f16 v62, v69, s3, v62
	v_add_f16_e32 v69, v41, v42
	v_add_f16_e32 v38, v38, v70
	v_sub_f16_e32 v87, v73, v71
	v_sub_f16_e32 v88, v70, v75
	v_fma_f16 v69, v69, -0.5, v134
	v_sub_f16_e32 v71, v71, v75
	v_add_f16_e32 v38, v38, v75
	v_fma_f16 v86, v56, s2, v86
	v_add_f16_e32 v87, v87, v88
	v_fma_f16 v56, v56, s12, v62
	v_fma_f16 v75, v71, s5, v69
	v_sub_f16_e32 v70, v73, v70
	v_fma_f16 v86, v87, s4, v86
	v_fma_f16 v56, v87, s4, v56
	;; [unrolled: 1-line block ×3, first 2 shown]
	v_sub_f16_e32 v75, v40, v41
	v_sub_f16_e32 v87, v43, v42
	v_fma_f16 v69, v71, s3, v69
	v_add_f16_e32 v62, v134, v40
	v_add_f16_e32 v75, v75, v87
	v_fma_f16 v69, v70, s2, v69
	v_add_f16_e32 v62, v62, v41
	v_fma_f16 v73, v75, s4, v73
	v_fma_f16 v69, v75, s4, v69
	v_add_f16_e32 v75, v40, v43
	v_add_f16_e32 v62, v62, v42
	v_fma_f16 v75, v75, -0.5, v134
	v_add_f16_e32 v62, v62, v43
	v_fma_f16 v87, v70, s3, v75
	v_sub_f16_e32 v40, v41, v40
	v_sub_f16_e32 v41, v42, v43
	v_add_f16_e32 v43, v74, v45
	v_fma_f16 v87, v71, s12, v87
	v_add_f16_e32 v40, v40, v41
	v_fma_f16 v42, v70, s5, v75
	v_fma_f16 v43, v43, -0.5, v0
	v_sub_f16_e32 v70, v44, v47
	v_fma_f16 v41, v40, s4, v87
	v_fma_f16 v42, v71, s2, v42
	;; [unrolled: 1-line block ×3, first 2 shown]
	v_sub_f16_e32 v75, v7, v46
	v_sub_f16_e32 v87, v72, v74
	;; [unrolled: 1-line block ×3, first 2 shown]
	v_fma_f16 v43, v70, s5, v43
	v_fma_f16 v71, v75, s2, v71
	v_add_f16_e32 v87, v87, v88
	v_fma_f16 v43, v75, s12, v43
	v_fma_f16 v71, v87, s4, v71
	;; [unrolled: 1-line block ×3, first 2 shown]
	v_add_f16_e32 v87, v72, v76
	v_lshrrev_b32_e32 v140, 16, v0
	v_fma_f16 v40, v40, s4, v42
	v_add_f16_e32 v42, v0, v72
	v_fma_f16 v0, v87, -0.5, v0
	v_add_f16_e32 v42, v42, v74
	v_fma_f16 v87, v75, s5, v0
	v_fma_f16 v0, v75, s3, v0
	v_add_f16_e32 v75, v7, v46
	v_add_f16_e32 v42, v42, v45
	v_sub_f16_e32 v88, v74, v72
	v_sub_f16_e32 v89, v45, v76
	v_fma_f16 v75, v75, -0.5, v140
	v_sub_f16_e32 v72, v72, v76
	v_add_f16_e32 v42, v42, v76
	v_fma_f16 v87, v70, s2, v87
	v_add_f16_e32 v88, v88, v89
	v_fma_f16 v0, v70, s12, v0
	v_fma_f16 v76, v72, s5, v75
	v_sub_f16_e32 v45, v74, v45
	v_fma_f16 v87, v88, s4, v87
	v_fma_f16 v0, v88, s4, v0
	v_fma_f16 v74, v45, s12, v76
	v_sub_f16_e32 v76, v44, v7
	v_sub_f16_e32 v88, v47, v46
	v_fma_f16 v75, v72, s3, v75
	v_add_f16_e32 v76, v76, v88
	v_fma_f16 v75, v45, s2, v75
	v_fma_f16 v74, v76, s4, v74
	;; [unrolled: 1-line block ×3, first 2 shown]
	v_add_f16_e32 v76, v44, v47
	v_add_f16_e32 v70, v140, v44
	v_fma_f16 v76, v76, -0.5, v140
	v_add_f16_e32 v70, v70, v7
	v_fma_f16 v88, v45, s3, v76
	v_sub_f16_e32 v7, v7, v44
	v_sub_f16_e32 v44, v46, v47
	v_fma_f16 v45, v45, s5, v76
	v_pack_b32_f16 v1, v3, v1
	v_fma_f16 v88, v72, s12, v88
	v_add_f16_e32 v7, v7, v44
	v_fma_f16 v45, v72, s2, v45
	ds_write_b32 v95, v1 offset:4704
	v_pack_b32_f16 v1, v78, v81
	v_fma_f16 v44, v7, s4, v88
	v_fma_f16 v7, v7, s4, v45
	v_pack_b32_f16 v45, v77, v79
	v_pack_b32_f16 v21, v80, v21
	;; [unrolled: 1-line block ×3, first 2 shown]
	ds_write_b32 v95, v1 offset:6272
	v_pack_b32_f16 v1, v8, v19
	v_pack_b32_f16 v3, v83, v10
	;; [unrolled: 1-line block ×3, first 2 shown]
	ds_write_b32 v95, v21 offset:1568
	ds_write_b32 v95, v5 offset:3136
	ds_write2_b32 v95, v45, v1 offset1:56
	v_pack_b32_f16 v1, v20, v25
	ds_write_b32 v95, v3 offset:3360
	ds_write_b32 v95, v2 offset:4928
	v_pack_b32_f16 v2, v9, v22
	v_pack_b32_f16 v3, v23, v29
	ds_write_b32 v95, v2 offset:6496
	ds_write2_b32 v63, v1, v3 offset0:192 offset1:248
	v_pack_b32_f16 v3, v13, v12
	ds_write_b32 v95, v3 offset:5152
	v_pack_b32_f16 v3, v11, v24
	v_pack_b32_f16 v2, v6, v15
	ds_write_b32 v95, v3 offset:6720
	v_pack_b32_f16 v3, v17, v28
	v_pack_b32_f16 v1, v26, v14
	ds_write2_b32 v95, v2, v3 offset0:112 offset1:168
	v_pack_b32_f16 v3, v84, v32
	ds_write2_b32 v54, v1, v3 offset0:128 offset1:184
	v_pack_b32_f16 v1, v16, v18
	v_pack_b32_f16 v2, v30, v57
	ds_write_b32 v95, v1 offset:5376
	v_pack_b32_f16 v1, v27, v31
	v_pack_b32_f16 v3, v55, v60
	ds_write_b32 v95, v1 offset:6944
	ds_write2_b32 v67, v2, v3 offset0:48 offset1:104
	v_pack_b32_f16 v3, v35, v36
	ds_write_b32 v95, v3 offset:5600
	v_pack_b32_f16 v3, v34, v61
	v_pack_b32_f16 v1, v33, v59
	ds_write_b32 v95, v3 offset:7168
	v_pack_b32_f16 v3, v38, v62
	v_pack_b32_f16 v2, v85, v37
	ds_write2_b32 v66, v1, v3 offset0:96 offset1:152
	v_pack_b32_f16 v3, v86, v41
	v_add_f16_e32 v70, v70, v46
	ds_write2_b32 v68, v2, v3 offset0:112 offset1:168
	v_pack_b32_f16 v2, v56, v40
	v_add_f16_e32 v70, v70, v47
	ds_write_b32 v95, v2 offset:5824
	v_pack_b32_f16 v2, v39, v69
	ds_write_b32 v95, v2 offset:7392
	v_pack_b32_f16 v2, v42, v70
	v_pack_b32_f16 v1, v58, v73
	ds_write_b32 v95, v2 offset:1344
	v_pack_b32_f16 v2, v71, v74
	v_pack_b32_f16 v0, v0, v7
	ds_write2_b32 v67, v1, v2 offset0:160 offset1:216
	v_pack_b32_f16 v1, v87, v44
	ds_write_b32 v95, v0 offset:6048
	v_pack_b32_f16 v0, v43, v75
	ds_write_b32 v95, v1 offset:4480
	ds_write_b32 v95, v0 offset:7616
	s_waitcnt lgkmcnt(0)
	; wave barrier
	s_waitcnt lgkmcnt(0)
	ds_read2_b32 v[0:1], v95 offset1:56
	s_mov_b32 s12, 0xec259dc8
	s_mov_b32 s13, 0x3f40b7e6
	v_mad_u64_u32 v[4:5], s[2:3], s10, v52, 0
	s_waitcnt lgkmcnt(0)
	v_lshrrev_b32_e32 v7, 16, v0
	v_mul_f16_sdwa v2, v128, v7 dst_sel:DWORD dst_unused:UNUSED_PAD src0_sel:WORD_1 src1_sel:DWORD
	v_fma_f16 v2, v128, v0, v2
	v_cvt_f32_f16_e32 v2, v2
	s_movk_i32 s15, 0x1ff
	v_mad_u64_u32 v[5:6], s[2:3], s11, v52, v[5:6]
	v_cvt_f64_f32_e32 v[2:3], v2
	s_movk_i32 s10, 0xffe
	v_mul_f16_sdwa v0, v128, v0 dst_sel:DWORD dst_unused:UNUSED_PAD src0_sel:WORD_1 src1_sel:DWORD
	v_fma_f16 v0, v128, v7, -v0
	v_mul_f64 v[2:3], v[2:3], s[12:13]
	v_cvt_f32_f16_e32 v0, v0
	s_movk_i32 s11, 0x40f
	s_mov_b32 s14, 0x8000
	v_lshlrev_b64 v[4:5], 2, v[4:5]
	s_mul_i32 s5, s8, 0xffffe9e8
	s_movk_i32 s16, 0x1000
	v_and_or_b32 v2, v3, s15, v2
	v_cmp_ne_u32_e32 vcc, 0, v2
	v_cndmask_b32_e64 v2, 0, 1, vcc
	v_lshrrev_b32_e32 v6, 8, v3
	v_bfe_u32 v8, v3, 20, 11
	v_and_or_b32 v2, v6, s10, v2
	v_sub_u32_e32 v9, 0x3f1, v8
	v_or_b32_e32 v6, 0x1000, v2
	v_med3_i32 v9, v9, 0, 13
	v_lshrrev_b32_e32 v10, v9, v6
	v_lshlrev_b32_e32 v9, v9, v10
	v_cmp_ne_u32_e32 vcc, v9, v6
	v_cndmask_b32_e64 v6, 0, 1, vcc
	v_add_u32_e32 v9, 0xfffffc10, v8
	v_or_b32_e32 v6, v10, v6
	v_lshl_or_b32 v8, v9, 12, v2
	v_cmp_gt_i32_e32 vcc, 1, v9
	v_cndmask_b32_e32 v6, v8, v6, vcc
	v_and_b32_e32 v8, 7, v6
	v_cmp_lt_i32_e32 vcc, 5, v8
	v_cmp_eq_u32_e64 s[2:3], 3, v8
	v_cvt_f64_f32_e32 v[7:8], v0
	v_lshrrev_b32_e32 v6, 2, v6
	s_or_b64 vcc, s[2:3], vcc
	v_addc_co_u32_e32 v10, vcc, 0, v6, vcc
	v_mul_f64 v[7:8], v[7:8], s[12:13]
	v_mov_b32_e32 v6, 0x7c00
	v_cmp_gt_i32_e32 vcc, 31, v9
	v_cndmask_b32_e32 v0, v6, v10, vcc
	v_cmp_ne_u32_e32 vcc, 0, v2
	v_cndmask_b32_e64 v2, 0, 1, vcc
	v_lshl_or_b32 v2, v2, 9, v6
	v_cmp_eq_u32_e32 vcc, s11, v9
	v_cndmask_b32_e32 v0, v0, v2, vcc
	v_lshrrev_b32_e32 v2, 16, v3
	v_and_or_b32 v11, v2, s14, v0
	v_and_or_b32 v0, v8, s15, v7
	v_cmp_ne_u32_e32 vcc, 0, v0
	v_cndmask_b32_e64 v0, 0, 1, vcc
	v_lshrrev_b32_e32 v2, 8, v8
	v_bfe_u32 v3, v8, 20, 11
	v_and_or_b32 v0, v2, s10, v0
	v_sub_u32_e32 v7, 0x3f1, v3
	v_or_b32_e32 v2, 0x1000, v0
	v_med3_i32 v7, v7, 0, 13
	v_lshrrev_b32_e32 v9, v7, v2
	v_lshlrev_b32_e32 v7, v7, v9
	v_cmp_ne_u32_e32 vcc, v7, v2
	v_cndmask_b32_e64 v2, 0, 1, vcc
	v_add_u32_e32 v3, 0xfffffc10, v3
	v_or_b32_e32 v2, v9, v2
	v_lshl_or_b32 v7, v3, 12, v0
	v_cmp_gt_i32_e32 vcc, 1, v3
	v_cndmask_b32_e32 v2, v7, v2, vcc
	v_and_b32_e32 v7, 7, v2
	v_cmp_lt_i32_e32 vcc, 5, v7
	v_cmp_eq_u32_e64 s[2:3], 3, v7
	v_lshrrev_b32_e32 v2, 2, v2
	s_or_b64 vcc, s[2:3], vcc
	v_addc_co_u32_e32 v2, vcc, 0, v2, vcc
	v_cmp_gt_i32_e32 vcc, 31, v3
	v_cndmask_b32_e32 v2, v6, v2, vcc
	v_cmp_ne_u32_e32 vcc, 0, v0
	v_cndmask_b32_e64 v0, 0, 1, vcc
	v_lshl_or_b32 v0, v0, 9, v6
	v_cmp_eq_u32_e32 vcc, s11, v3
	v_cndmask_b32_e32 v12, v2, v0, vcc
	v_add_u32_e32 v0, 0x600, v95
	v_mad_u64_u32 v[9:10], s[2:3], s8, v126, 0
	ds_read2_b32 v[2:3], v0 offset0:106 offset1:162
	v_lshrrev_b32_e32 v13, 16, v8
	v_mov_b32_e32 v0, v10
	v_mad_u64_u32 v[7:8], s[2:3], s9, v126, v[0:1]
	s_waitcnt lgkmcnt(0)
	v_lshrrev_b32_e32 v0, 16, v2
	v_mul_f16_sdwa v8, v127, v0 dst_sel:DWORD dst_unused:UNUSED_PAD src0_sel:WORD_1 src1_sel:DWORD
	v_fma_f16 v8, v127, v2, v8
	v_cvt_f32_f16_e32 v8, v8
	v_mov_b32_e32 v10, v7
	v_and_or_b32 v12, v13, s14, v12
	v_and_b32_e32 v11, 0xffff, v11
	v_cvt_f64_f32_e32 v[7:8], v8
	v_lshl_or_b32 v15, v12, 16, v11
	v_mov_b32_e32 v13, s7
	v_mul_f16_sdwa v2, v127, v2 dst_sel:DWORD dst_unused:UNUSED_PAD src0_sel:WORD_1 src1_sel:DWORD
	v_mul_f64 v[11:12], v[7:8], s[12:13]
	v_add_co_u32_e32 v7, vcc, s6, v4
	v_addc_co_u32_e32 v8, vcc, v13, v5, vcc
	v_lshlrev_b64 v[4:5], 2, v[9:10]
	v_fma_f16 v0, v127, v0, -v2
	v_add_co_u32_e32 v13, vcc, v7, v4
	v_addc_co_u32_e32 v14, vcc, v8, v5, vcc
	v_and_or_b32 v4, v12, s15, v11
	v_cmp_ne_u32_e32 vcc, 0, v4
	v_cndmask_b32_e64 v4, 0, 1, vcc
	v_lshrrev_b32_e32 v5, 8, v12
	v_and_or_b32 v11, v5, s10, v4
	v_bfe_u32 v5, v12, 20, 11
	v_sub_u32_e32 v9, 0x3f1, v5
	v_or_b32_e32 v4, 0x1000, v11
	v_med3_i32 v9, v9, 0, 13
	v_lshrrev_b32_e32 v10, v9, v4
	v_lshlrev_b32_e32 v9, v9, v10
	v_cmp_ne_u32_e32 vcc, v9, v4
	global_store_dword v[13:14], v15, off
	v_cndmask_b32_e64 v4, 0, 1, vcc
	v_add_u32_e32 v15, 0xfffffc10, v5
	v_cvt_f32_f16_e32 v0, v0
	v_or_b32_e32 v4, v10, v4
	v_lshl_or_b32 v5, v15, 12, v11
	v_cmp_gt_i32_e32 vcc, 1, v15
	v_cndmask_b32_e32 v4, v5, v4, vcc
	v_and_b32_e32 v5, 7, v4
	v_cmp_lt_i32_e32 vcc, 5, v5
	v_cmp_eq_u32_e64 s[2:3], 3, v5
	v_lshrrev_b32_e32 v2, 2, v4
	v_cvt_f64_f32_e32 v[4:5], v0
	s_or_b64 vcc, s[2:3], vcc
	v_addc_co_u32_e32 v0, vcc, 0, v2, vcc
	v_mul_f64 v[9:10], v[4:5], s[12:13]
	v_cmp_gt_i32_e32 vcc, 31, v15
	v_cndmask_b32_e32 v0, v6, v0, vcc
	v_cmp_ne_u32_e32 vcc, 0, v11
	v_cndmask_b32_e64 v2, 0, 1, vcc
	v_lshl_or_b32 v2, v2, 9, v6
	v_cmp_eq_u32_e32 vcc, s11, v15
	v_cndmask_b32_e32 v0, v0, v2, vcc
	v_lshrrev_b32_e32 v2, 16, v12
	v_and_or_b32 v0, v2, s14, v0
	v_and_or_b32 v2, v10, s15, v9
	v_cmp_ne_u32_e32 vcc, 0, v2
	v_cndmask_b32_e64 v2, 0, 1, vcc
	v_lshrrev_b32_e32 v4, 8, v10
	v_bfe_u32 v5, v10, 20, 11
	v_and_or_b32 v2, v4, s10, v2
	v_sub_u32_e32 v9, 0x3f1, v5
	v_or_b32_e32 v4, 0x1000, v2
	v_med3_i32 v9, v9, 0, 13
	v_lshrrev_b32_e32 v11, v9, v4
	v_lshlrev_b32_e32 v9, v9, v11
	v_cmp_ne_u32_e32 vcc, v9, v4
	v_cndmask_b32_e64 v4, 0, 1, vcc
	v_add_u32_e32 v9, 0xfffffc10, v5
	v_or_b32_e32 v4, v11, v4
	v_lshl_or_b32 v5, v9, 12, v2
	v_cmp_gt_i32_e32 vcc, 1, v9
	v_cndmask_b32_e32 v4, v5, v4, vcc
	v_and_b32_e32 v5, 7, v4
	v_cmp_lt_i32_e32 vcc, 5, v5
	v_cmp_eq_u32_e64 s[2:3], 3, v5
	v_lshrrev_b32_e32 v4, 2, v4
	s_or_b64 vcc, s[2:3], vcc
	v_addc_co_u32_e32 v4, vcc, 0, v4, vcc
	v_cmp_gt_i32_e32 vcc, 31, v9
	v_cndmask_b32_e32 v11, v6, v4, vcc
	ds_read2_b32 v[4:5], v68 offset0:84 offset1:140
	v_cmp_ne_u32_e32 vcc, 0, v2
	v_cndmask_b32_e64 v2, 0, 1, vcc
	v_lshl_or_b32 v2, v2, 9, v6
	v_cmp_eq_u32_e32 vcc, s11, v9
	v_cndmask_b32_e32 v2, v11, v2, vcc
	v_lshrrev_b32_e32 v9, 16, v10
	s_waitcnt lgkmcnt(0)
	v_lshrrev_b32_e32 v15, 16, v4
	v_and_or_b32 v2, v9, s14, v2
	v_mul_f16_sdwa v9, v125, v15 dst_sel:DWORD dst_unused:UNUSED_PAD src0_sel:WORD_1 src1_sel:DWORD
	v_fma_f16 v9, v125, v4, v9
	v_cvt_f32_f16_e32 v9, v9
	s_mul_i32 s2, s9, 0x1ea
	s_mul_hi_u32 s3, s8, 0x1ea
	s_add_i32 s3, s3, s2
	v_cvt_f64_f32_e32 v[9:10], v9
	s_mul_i32 s2, s8, 0x1ea
	s_lshl_b64 s[6:7], s[2:3], 2
	v_and_b32_e32 v0, 0xffff, v0
	v_mul_f64 v[10:11], v[9:10], s[12:13]
	v_mov_b32_e32 v9, s7
	v_add_co_u32_e32 v12, vcc, s6, v13
	v_lshl_or_b32 v0, v2, 16, v0
	v_addc_co_u32_e32 v13, vcc, v14, v9, vcc
	global_store_dword v[12:13], v0, off
	v_and_or_b32 v0, v11, s15, v10
	v_cmp_ne_u32_e32 vcc, 0, v0
	v_cndmask_b32_e64 v0, 0, 1, vcc
	v_lshrrev_b32_e32 v2, 8, v11
	v_bfe_u32 v10, v11, 20, 11
	v_and_or_b32 v0, v2, s10, v0
	v_sub_u32_e32 v14, 0x3f1, v10
	v_or_b32_e32 v2, 0x1000, v0
	v_med3_i32 v14, v14, 0, 13
	v_lshrrev_b32_e32 v16, v14, v2
	v_lshlrev_b32_e32 v14, v14, v16
	v_mul_f16_sdwa v4, v125, v4 dst_sel:DWORD dst_unused:UNUSED_PAD src0_sel:WORD_1 src1_sel:DWORD
	v_cmp_ne_u32_e32 vcc, v14, v2
	v_fma_f16 v4, v125, v15, -v4
	v_cndmask_b32_e64 v2, 0, 1, vcc
	v_add_u32_e32 v10, 0xfffffc10, v10
	v_cvt_f32_f16_e32 v4, v4
	v_or_b32_e32 v2, v16, v2
	v_lshl_or_b32 v14, v10, 12, v0
	v_cmp_gt_i32_e32 vcc, 1, v10
	v_cndmask_b32_e32 v2, v14, v2, vcc
	v_and_b32_e32 v14, 7, v2
	v_cmp_lt_i32_e32 vcc, 5, v14
	v_cmp_eq_u32_e64 s[2:3], 3, v14
	v_cvt_f64_f32_e32 v[14:15], v4
	v_lshrrev_b32_e32 v2, 2, v2
	s_or_b64 vcc, s[2:3], vcc
	v_addc_co_u32_e32 v2, vcc, 0, v2, vcc
	v_mul_f64 v[14:15], v[14:15], s[12:13]
	v_cmp_gt_i32_e32 vcc, 31, v10
	v_cndmask_b32_e32 v2, v6, v2, vcc
	v_cmp_ne_u32_e32 vcc, 0, v0
	v_cndmask_b32_e64 v0, 0, 1, vcc
	v_lshl_or_b32 v0, v0, 9, v6
	v_cmp_eq_u32_e32 vcc, s11, v10
	v_cndmask_b32_e32 v0, v2, v0, vcc
	v_lshrrev_b32_e32 v2, 16, v11
	v_and_or_b32 v0, v2, s14, v0
	v_and_or_b32 v2, v15, s15, v14
	v_cmp_ne_u32_e32 vcc, 0, v2
	v_cndmask_b32_e64 v2, 0, 1, vcc
	v_lshrrev_b32_e32 v4, 8, v15
	v_bfe_u32 v10, v15, 20, 11
	v_and_or_b32 v2, v4, s10, v2
	v_sub_u32_e32 v11, 0x3f1, v10
	v_or_b32_e32 v4, 0x1000, v2
	v_med3_i32 v11, v11, 0, 13
	v_lshrrev_b32_e32 v14, v11, v4
	v_lshlrev_b32_e32 v11, v11, v14
	v_cmp_ne_u32_e32 vcc, v11, v4
	v_cndmask_b32_e64 v4, 0, 1, vcc
	v_or_b32_e32 v4, v14, v4
	v_add_u32_e32 v14, 0xfffffc10, v10
	v_lshl_or_b32 v10, v14, 12, v2
	v_cmp_gt_i32_e32 vcc, 1, v14
	v_cndmask_b32_e32 v4, v10, v4, vcc
	v_and_b32_e32 v10, 7, v4
	v_cmp_lt_i32_e32 vcc, 5, v10
	v_cmp_eq_u32_e64 s[2:3], 3, v10
	ds_read2_b32 v[10:11], v53 offset0:190 offset1:246
	v_lshrrev_b32_e32 v4, 2, v4
	s_or_b64 vcc, s[2:3], vcc
	v_addc_co_u32_e32 v4, vcc, 0, v4, vcc
	s_waitcnt lgkmcnt(0)
	v_lshrrev_b32_e32 v18, 16, v10
	v_mul_f16_sdwa v16, v123, v18 dst_sel:DWORD dst_unused:UNUSED_PAD src0_sel:WORD_1 src1_sel:DWORD
	v_fma_f16 v16, v123, v10, v16
	v_cvt_f32_f16_e32 v16, v16
	v_cmp_gt_i32_e32 vcc, 31, v14
	v_cndmask_b32_e32 v4, v6, v4, vcc
	v_cmp_ne_u32_e32 vcc, 0, v2
	v_cvt_f64_f32_e32 v[16:17], v16
	v_cndmask_b32_e64 v2, 0, 1, vcc
	v_lshl_or_b32 v2, v2, 9, v6
	v_cmp_eq_u32_e32 vcc, s11, v14
	v_cndmask_b32_e32 v2, v4, v2, vcc
	v_lshrrev_b32_e32 v4, 16, v15
	v_mul_f64 v[14:15], v[16:17], s[12:13]
	v_and_or_b32 v2, v4, s14, v2
	v_and_b32_e32 v0, 0xffff, v0
	v_add_co_u32_e32 v12, vcc, s6, v12
	v_lshl_or_b32 v0, v2, 16, v0
	v_addc_co_u32_e32 v13, vcc, v13, v9, vcc
	global_store_dword v[12:13], v0, off
	v_and_or_b32 v0, v15, s15, v14
	v_cmp_ne_u32_e32 vcc, 0, v0
	v_cndmask_b32_e64 v0, 0, 1, vcc
	v_lshrrev_b32_e32 v2, 8, v15
	v_bfe_u32 v4, v15, 20, 11
	v_and_or_b32 v0, v2, s10, v0
	v_sub_u32_e32 v14, 0x3f1, v4
	v_mul_f16_sdwa v10, v123, v10 dst_sel:DWORD dst_unused:UNUSED_PAD src0_sel:WORD_1 src1_sel:DWORD
	v_or_b32_e32 v2, 0x1000, v0
	v_med3_i32 v14, v14, 0, 13
	v_fma_f16 v10, v123, v18, -v10
	v_lshrrev_b32_e32 v16, v14, v2
	v_cvt_f32_f16_e32 v10, v10
	v_lshlrev_b32_e32 v14, v14, v16
	v_cmp_ne_u32_e32 vcc, v14, v2
	v_cndmask_b32_e64 v2, 0, 1, vcc
	v_or_b32_e32 v2, v16, v2
	v_add_u32_e32 v4, 0xfffffc10, v4
	v_cvt_f64_f32_e32 v[16:17], v10
	v_lshl_or_b32 v14, v4, 12, v0
	v_cmp_gt_i32_e32 vcc, 1, v4
	v_cndmask_b32_e32 v2, v14, v2, vcc
	v_and_b32_e32 v14, 7, v2
	v_cmp_lt_i32_e32 vcc, 5, v14
	v_cmp_eq_u32_e64 s[2:3], 3, v14
	v_mul_f64 v[16:17], v[16:17], s[12:13]
	v_lshrrev_b32_e32 v2, 2, v2
	s_or_b64 vcc, s[2:3], vcc
	v_addc_co_u32_e32 v2, vcc, 0, v2, vcc
	v_cmp_gt_i32_e32 vcc, 31, v4
	v_cndmask_b32_e32 v2, v6, v2, vcc
	v_cmp_ne_u32_e32 vcc, 0, v0
	v_cndmask_b32_e64 v0, 0, 1, vcc
	v_lshl_or_b32 v0, v0, 9, v6
	v_cmp_eq_u32_e32 vcc, s11, v4
	v_cndmask_b32_e32 v0, v2, v0, vcc
	v_lshrrev_b32_e32 v2, 16, v15
	v_and_or_b32 v0, v2, s14, v0
	v_and_or_b32 v2, v17, s15, v16
	v_cmp_ne_u32_e32 vcc, 0, v2
	v_cndmask_b32_e64 v2, 0, 1, vcc
	v_lshrrev_b32_e32 v4, 8, v17
	v_bfe_u32 v10, v17, 20, 11
	v_and_or_b32 v2, v4, s10, v2
	v_sub_u32_e32 v14, 0x3f1, v10
	v_or_b32_e32 v4, 0x1000, v2
	v_med3_i32 v14, v14, 0, 13
	v_lshrrev_b32_e32 v15, v14, v4
	v_lshlrev_b32_e32 v14, v14, v15
	v_cmp_ne_u32_e32 vcc, v14, v4
	v_cndmask_b32_e64 v4, 0, 1, vcc
	v_add_u32_e32 v10, 0xfffffc10, v10
	v_or_b32_e32 v4, v15, v4
	v_lshl_or_b32 v14, v10, 12, v2
	v_cmp_gt_i32_e32 vcc, 1, v10
	v_cndmask_b32_e32 v4, v14, v4, vcc
	v_and_b32_e32 v14, 7, v4
	v_lshrrev_b32_e32 v16, 16, v1
	v_cmp_lt_i32_e32 vcc, 5, v14
	v_cmp_eq_u32_e64 s[2:3], 3, v14
	v_mul_f16_sdwa v14, v121, v16 dst_sel:DWORD dst_unused:UNUSED_PAD src0_sel:WORD_1 src1_sel:DWORD
	v_fma_f16 v14, v121, v1, v14
	v_cvt_f32_f16_e32 v14, v14
	v_lshrrev_b32_e32 v4, 2, v4
	s_or_b64 vcc, s[2:3], vcc
	v_addc_co_u32_e32 v4, vcc, 0, v4, vcc
	v_cvt_f64_f32_e32 v[14:15], v14
	v_cmp_gt_i32_e32 vcc, 31, v10
	v_cndmask_b32_e32 v4, v6, v4, vcc
	v_cmp_ne_u32_e32 vcc, 0, v2
	v_mul_f64 v[14:15], v[14:15], s[12:13]
	v_cndmask_b32_e64 v2, 0, 1, vcc
	v_lshl_or_b32 v2, v2, 9, v6
	v_cmp_eq_u32_e32 vcc, s11, v10
	v_cndmask_b32_e32 v2, v4, v2, vcc
	v_lshrrev_b32_e32 v4, 16, v17
	v_and_or_b32 v2, v4, s14, v2
	v_and_b32_e32 v0, 0xffff, v0
	v_add_co_u32_e32 v12, vcc, s6, v12
	v_lshl_or_b32 v0, v2, 16, v0
	v_addc_co_u32_e32 v13, vcc, v13, v9, vcc
	global_store_dword v[12:13], v0, off
	v_and_or_b32 v0, v15, s15, v14
	v_cmp_ne_u32_e32 vcc, 0, v0
	v_cndmask_b32_e64 v0, 0, 1, vcc
	v_lshrrev_b32_e32 v2, 8, v15
	v_bfe_u32 v4, v15, 20, 11
	v_and_or_b32 v2, v2, s10, v0
	v_sub_u32_e32 v10, 0x3f1, v4
	v_or_b32_e32 v0, 0x1000, v2
	v_med3_i32 v10, v10, 0, 13
	v_lshrrev_b32_e32 v14, v10, v0
	v_lshlrev_b32_e32 v10, v10, v14
	v_mul_f16_sdwa v1, v121, v1 dst_sel:DWORD dst_unused:UNUSED_PAD src0_sel:WORD_1 src1_sel:DWORD
	v_cmp_ne_u32_e32 vcc, v10, v0
	v_fma_f16 v1, v121, v16, -v1
	v_cndmask_b32_e64 v0, 0, 1, vcc
	v_add_u32_e32 v4, 0xfffffc10, v4
	v_cvt_f32_f16_e32 v1, v1
	v_or_b32_e32 v0, v14, v0
	v_lshl_or_b32 v10, v4, 12, v2
	v_cmp_gt_i32_e32 vcc, 1, v4
	v_cndmask_b32_e32 v0, v10, v0, vcc
	v_and_b32_e32 v10, 7, v0
	v_cmp_lt_i32_e32 vcc, 5, v10
	v_cmp_eq_u32_e64 s[2:3], 3, v10
	v_lshrrev_b32_e32 v10, 2, v0
	v_cvt_f64_f32_e32 v[0:1], v1
	s_or_b64 vcc, s[2:3], vcc
	v_addc_co_u32_e32 v10, vcc, 0, v10, vcc
	v_mul_f64 v[0:1], v[0:1], s[12:13]
	v_cmp_gt_i32_e32 vcc, 31, v4
	v_cndmask_b32_e32 v10, v6, v10, vcc
	v_cmp_ne_u32_e32 vcc, 0, v2
	v_cndmask_b32_e64 v2, 0, 1, vcc
	v_lshl_or_b32 v2, v2, 9, v6
	v_cmp_eq_u32_e32 vcc, s11, v4
	v_cndmask_b32_e32 v2, v10, v2, vcc
	v_and_or_b32 v0, v1, s15, v0
	v_lshrrev_b32_e32 v4, 16, v15
	v_cmp_ne_u32_e32 vcc, 0, v0
	v_and_or_b32 v2, v4, s14, v2
	v_cndmask_b32_e64 v0, 0, 1, vcc
	v_lshrrev_b32_e32 v4, 8, v1
	v_bfe_u32 v10, v1, 20, 11
	v_and_or_b32 v0, v4, s10, v0
	v_sub_u32_e32 v14, 0x3f1, v10
	v_or_b32_e32 v4, 0x1000, v0
	v_med3_i32 v14, v14, 0, 13
	v_lshrrev_b32_e32 v15, v14, v4
	v_lshlrev_b32_e32 v14, v14, v15
	v_cmp_ne_u32_e32 vcc, v14, v4
	v_cndmask_b32_e64 v4, 0, 1, vcc
	v_add_u32_e32 v10, 0xfffffc10, v10
	v_or_b32_e32 v4, v15, v4
	v_lshl_or_b32 v14, v10, 12, v0
	v_cmp_gt_i32_e32 vcc, 1, v10
	v_cndmask_b32_e32 v4, v14, v4, vcc
	v_and_b32_e32 v14, 7, v4
	v_cmp_lt_i32_e32 vcc, 5, v14
	v_cmp_eq_u32_e64 s[2:3], 3, v14
	v_lshrrev_b32_e32 v4, 2, v4
	s_or_b64 vcc, s[2:3], vcc
	v_addc_co_u32_e32 v4, vcc, 0, v4, vcc
	v_cmp_gt_i32_e32 vcc, 31, v10
	v_cndmask_b32_e32 v4, v6, v4, vcc
	v_cmp_ne_u32_e32 vcc, 0, v0
	v_cndmask_b32_e64 v0, 0, 1, vcc
	v_lshl_or_b32 v0, v0, 9, v6
	v_cmp_eq_u32_e32 vcc, s11, v10
	v_cndmask_b32_e32 v0, v4, v0, vcc
	v_lshrrev_b32_e32 v1, 16, v1
	v_lshrrev_b32_e32 v4, 16, v3
	v_and_or_b32 v0, v1, s14, v0
	v_mul_f16_sdwa v1, v120, v4 dst_sel:DWORD dst_unused:UNUSED_PAD src0_sel:WORD_1 src1_sel:DWORD
	v_fma_f16 v1, v120, v3, v1
	v_cvt_f32_f16_e32 v1, v1
	v_and_b32_e32 v2, 0xffff, v2
	v_lshl_or_b32 v2, v0, 16, v2
	s_mul_hi_u32 s3, s8, 0xffffe9e8
	v_cvt_f64_f32_e32 v[0:1], v1
	s_mul_i32 s2, s9, 0xffffe9e8
	s_sub_i32 s4, s3, s8
	s_add_i32 s4, s4, s2
	v_mul_f64 v[0:1], v[0:1], s[12:13]
	v_mov_b32_e32 v10, s4
	v_add_co_u32_e32 v12, vcc, s5, v12
	v_addc_co_u32_e32 v13, vcc, v13, v10, vcc
	global_store_dword v[12:13], v2, off
	v_mul_f16_sdwa v3, v120, v3 dst_sel:DWORD dst_unused:UNUSED_PAD src0_sel:WORD_1 src1_sel:DWORD
	v_and_or_b32 v0, v1, s15, v0
	v_cmp_ne_u32_e32 vcc, 0, v0
	v_cndmask_b32_e64 v0, 0, 1, vcc
	v_lshrrev_b32_e32 v2, 8, v1
	v_bfe_u32 v10, v1, 20, 11
	v_and_or_b32 v0, v2, s10, v0
	v_sub_u32_e32 v14, 0x3f1, v10
	v_or_b32_e32 v2, 0x1000, v0
	v_med3_i32 v14, v14, 0, 13
	v_lshrrev_b32_e32 v15, v14, v2
	v_lshlrev_b32_e32 v14, v14, v15
	v_fma_f16 v3, v120, v4, -v3
	v_cmp_ne_u32_e32 vcc, v14, v2
	v_cvt_f32_f16_e32 v3, v3
	v_cndmask_b32_e64 v2, 0, 1, vcc
	v_add_u32_e32 v10, 0xfffffc10, v10
	v_or_b32_e32 v2, v15, v2
	v_lshl_or_b32 v14, v10, 12, v0
	v_cmp_gt_i32_e32 vcc, 1, v10
	v_cndmask_b32_e32 v2, v14, v2, vcc
	v_and_b32_e32 v14, 7, v2
	v_lshrrev_b32_e32 v4, 2, v2
	v_cvt_f64_f32_e32 v[2:3], v3
	v_cmp_lt_i32_e32 vcc, 5, v14
	v_cmp_eq_u32_e64 s[2:3], 3, v14
	s_or_b64 vcc, s[2:3], vcc
	v_mul_f64 v[2:3], v[2:3], s[12:13]
	v_addc_co_u32_e32 v4, vcc, 0, v4, vcc
	v_cmp_gt_i32_e32 vcc, 31, v10
	v_cndmask_b32_e32 v4, v6, v4, vcc
	v_cmp_ne_u32_e32 vcc, 0, v0
	v_cndmask_b32_e64 v0, 0, 1, vcc
	v_lshl_or_b32 v0, v0, 9, v6
	v_cmp_eq_u32_e32 vcc, s11, v10
	v_cndmask_b32_e32 v0, v4, v0, vcc
	v_lshrrev_b32_e32 v1, 16, v1
	v_and_or_b32 v4, v1, s14, v0
	v_and_or_b32 v0, v3, s15, v2
	v_cmp_ne_u32_e32 vcc, 0, v0
	v_cndmask_b32_e64 v0, 0, 1, vcc
	v_lshrrev_b32_e32 v1, 8, v3
	v_bfe_u32 v2, v3, 20, 11
	v_and_or_b32 v0, v1, s10, v0
	v_sub_u32_e32 v10, 0x3f1, v2
	v_or_b32_e32 v1, 0x1000, v0
	v_med3_i32 v10, v10, 0, 13
	v_lshrrev_b32_e32 v14, v10, v1
	v_lshlrev_b32_e32 v10, v10, v14
	v_cmp_ne_u32_e32 vcc, v10, v1
	v_cndmask_b32_e64 v1, 0, 1, vcc
	v_add_u32_e32 v2, 0xfffffc10, v2
	v_or_b32_e32 v1, v14, v1
	v_lshl_or_b32 v10, v2, 12, v0
	v_cmp_gt_i32_e32 vcc, 1, v2
	v_cndmask_b32_e32 v1, v10, v1, vcc
	v_and_b32_e32 v10, 7, v1
	v_cmp_lt_i32_e32 vcc, 5, v10
	v_cmp_eq_u32_e64 s[2:3], 3, v10
	v_lshrrev_b32_e32 v1, 2, v1
	s_or_b64 vcc, s[2:3], vcc
	v_addc_co_u32_e32 v1, vcc, 0, v1, vcc
	v_cmp_gt_i32_e32 vcc, 31, v2
	v_lshrrev_b32_e32 v14, 16, v5
	v_cndmask_b32_e32 v10, v6, v1, vcc
	v_mul_f16_sdwa v1, v124, v14 dst_sel:DWORD dst_unused:UNUSED_PAD src0_sel:WORD_1 src1_sel:DWORD
	v_fma_f16 v1, v124, v5, v1
	v_cvt_f32_f16_e32 v1, v1
	v_cmp_ne_u32_e32 vcc, 0, v0
	v_cndmask_b32_e64 v0, 0, 1, vcc
	v_lshl_or_b32 v15, v0, 9, v6
	v_cvt_f64_f32_e32 v[0:1], v1
	v_cmp_eq_u32_e32 vcc, s11, v2
	v_cndmask_b32_e32 v2, v10, v15, vcc
	v_lshrrev_b32_e32 v3, 16, v3
	v_mul_f64 v[0:1], v[0:1], s[12:13]
	v_and_or_b32 v2, v3, s14, v2
	v_and_b32_e32 v3, 0xffff, v4
	v_lshl_or_b32 v4, v2, 16, v3
	v_add_co_u32_e32 v2, vcc, s6, v12
	v_addc_co_u32_e32 v3, vcc, v13, v9, vcc
	v_and_or_b32 v0, v1, s15, v0
	v_cmp_ne_u32_e32 vcc, 0, v0
	global_store_dword v[2:3], v4, off
	v_cndmask_b32_e64 v0, 0, 1, vcc
	v_lshrrev_b32_e32 v4, 8, v1
	v_bfe_u32 v10, v1, 20, 11
	v_and_or_b32 v0, v4, s10, v0
	v_sub_u32_e32 v12, 0x3f1, v10
	v_or_b32_e32 v4, 0x1000, v0
	v_med3_i32 v12, v12, 0, 13
	v_lshrrev_b32_e32 v13, v12, v4
	v_lshlrev_b32_e32 v12, v12, v13
	v_mul_f16_sdwa v5, v124, v5 dst_sel:DWORD dst_unused:UNUSED_PAD src0_sel:WORD_1 src1_sel:DWORD
	v_cmp_ne_u32_e32 vcc, v12, v4
	v_fma_f16 v5, v124, v14, -v5
	v_cndmask_b32_e64 v4, 0, 1, vcc
	v_add_u32_e32 v10, 0xfffffc10, v10
	v_cvt_f32_f16_e32 v5, v5
	v_or_b32_e32 v4, v13, v4
	v_lshl_or_b32 v12, v10, 12, v0
	v_cmp_gt_i32_e32 vcc, 1, v10
	v_cndmask_b32_e32 v4, v12, v4, vcc
	v_and_b32_e32 v12, 7, v4
	v_cmp_lt_i32_e32 vcc, 5, v12
	v_cmp_eq_u32_e64 s[2:3], 3, v12
	v_lshrrev_b32_e32 v12, 2, v4
	v_cvt_f64_f32_e32 v[4:5], v5
	s_or_b64 vcc, s[2:3], vcc
	v_addc_co_u32_e32 v12, vcc, 0, v12, vcc
	v_mul_f64 v[4:5], v[4:5], s[12:13]
	v_cmp_gt_i32_e32 vcc, 31, v10
	v_cndmask_b32_e32 v12, v6, v12, vcc
	v_cmp_ne_u32_e32 vcc, 0, v0
	v_cndmask_b32_e64 v0, 0, 1, vcc
	v_lshl_or_b32 v0, v0, 9, v6
	v_cmp_eq_u32_e32 vcc, s11, v10
	v_cndmask_b32_e32 v0, v12, v0, vcc
	v_lshrrev_b32_e32 v1, 16, v1
	v_and_or_b32 v10, v1, s14, v0
	v_and_or_b32 v0, v5, s15, v4
	v_cmp_ne_u32_e32 vcc, 0, v0
	v_cndmask_b32_e64 v0, 0, 1, vcc
	v_lshrrev_b32_e32 v1, 8, v5
	v_bfe_u32 v4, v5, 20, 11
	v_and_or_b32 v0, v1, s10, v0
	v_sub_u32_e32 v12, 0x3f1, v4
	v_or_b32_e32 v1, 0x1000, v0
	v_med3_i32 v12, v12, 0, 13
	v_lshrrev_b32_e32 v13, v12, v1
	v_lshlrev_b32_e32 v12, v12, v13
	v_cmp_ne_u32_e32 vcc, v12, v1
	v_cndmask_b32_e64 v1, 0, 1, vcc
	v_add_u32_e32 v4, 0xfffffc10, v4
	v_or_b32_e32 v1, v13, v1
	v_lshl_or_b32 v12, v4, 12, v0
	v_cmp_gt_i32_e32 vcc, 1, v4
	v_cndmask_b32_e32 v1, v12, v1, vcc
	v_and_b32_e32 v12, 7, v1
	v_cmp_lt_i32_e32 vcc, 5, v12
	v_cmp_eq_u32_e64 s[2:3], 3, v12
	v_lshrrev_b32_e32 v1, 2, v1
	s_or_b64 vcc, s[2:3], vcc
	v_addc_co_u32_e32 v1, vcc, 0, v1, vcc
	v_cmp_gt_i32_e32 vcc, 31, v4
	v_lshrrev_b32_e32 v13, 16, v11
	v_cndmask_b32_e32 v12, v6, v1, vcc
	v_mul_f16_sdwa v1, v122, v13 dst_sel:DWORD dst_unused:UNUSED_PAD src0_sel:WORD_1 src1_sel:DWORD
	v_fma_f16 v1, v122, v11, v1
	v_cvt_f32_f16_e32 v1, v1
	v_cmp_ne_u32_e32 vcc, 0, v0
	v_cndmask_b32_e64 v0, 0, 1, vcc
	v_lshl_or_b32 v14, v0, 9, v6
	v_cvt_f64_f32_e32 v[0:1], v1
	v_cmp_eq_u32_e32 vcc, s11, v4
	v_cndmask_b32_e32 v4, v12, v14, vcc
	v_lshrrev_b32_e32 v5, 16, v5
	v_mul_f64 v[0:1], v[0:1], s[12:13]
	v_add_co_u32_e32 v2, vcc, s6, v2
	v_and_or_b32 v4, v5, s14, v4
	v_and_b32_e32 v5, 0xffff, v10
	v_addc_co_u32_e32 v3, vcc, v3, v9, vcc
	v_lshl_or_b32 v4, v4, 16, v5
	v_and_or_b32 v0, v1, s15, v0
	v_cmp_ne_u32_e32 vcc, 0, v0
	global_store_dword v[2:3], v4, off
	v_cndmask_b32_e64 v0, 0, 1, vcc
	v_lshrrev_b32_e32 v4, 8, v1
	v_bfe_u32 v5, v1, 20, 11
	v_and_or_b32 v0, v4, s10, v0
	v_sub_u32_e32 v10, 0x3f1, v5
	v_or_b32_e32 v4, 0x1000, v0
	v_med3_i32 v10, v10, 0, 13
	v_lshrrev_b32_e32 v12, v10, v4
	v_lshlrev_b32_e32 v10, v10, v12
	v_mul_f16_sdwa v11, v122, v11 dst_sel:DWORD dst_unused:UNUSED_PAD src0_sel:WORD_1 src1_sel:DWORD
	v_cmp_ne_u32_e32 vcc, v10, v4
	v_fma_f16 v11, v122, v13, -v11
	v_cndmask_b32_e64 v4, 0, 1, vcc
	v_add_u32_e32 v10, 0xfffffc10, v5
	v_cvt_f32_f16_e32 v11, v11
	v_or_b32_e32 v4, v12, v4
	v_lshl_or_b32 v5, v10, 12, v0
	v_cmp_gt_i32_e32 vcc, 1, v10
	v_cndmask_b32_e32 v4, v5, v4, vcc
	v_and_b32_e32 v5, 7, v4
	v_cmp_lt_i32_e32 vcc, 5, v5
	v_cmp_eq_u32_e64 s[2:3], 3, v5
	v_lshrrev_b32_e32 v12, 2, v4
	v_cvt_f64_f32_e32 v[4:5], v11
	s_or_b64 vcc, s[2:3], vcc
	v_addc_co_u32_e32 v11, vcc, 0, v12, vcc
	v_mul_f64 v[4:5], v[4:5], s[12:13]
	v_cmp_gt_i32_e32 vcc, 31, v10
	v_cndmask_b32_e32 v11, v6, v11, vcc
	v_cmp_ne_u32_e32 vcc, 0, v0
	v_cndmask_b32_e64 v0, 0, 1, vcc
	v_lshl_or_b32 v0, v0, 9, v6
	v_cmp_eq_u32_e32 vcc, s11, v10
	v_cndmask_b32_e32 v0, v11, v0, vcc
	v_lshrrev_b32_e32 v1, 16, v1
	v_and_or_b32 v12, v1, s14, v0
	v_and_or_b32 v0, v5, s15, v4
	v_cmp_ne_u32_e32 vcc, 0, v0
	v_cndmask_b32_e64 v0, 0, 1, vcc
	v_lshrrev_b32_e32 v1, 8, v5
	v_and_or_b32 v4, v1, s10, v0
	v_bfe_u32 v1, v5, 20, 11
	v_sub_u32_e32 v10, 0x3f1, v1
	v_or_b32_e32 v0, 0x1000, v4
	v_med3_i32 v10, v10, 0, 13
	v_lshrrev_b32_e32 v11, v10, v0
	v_lshlrev_b32_e32 v10, v10, v11
	v_cmp_ne_u32_e32 vcc, v10, v0
	v_cndmask_b32_e64 v0, 0, 1, vcc
	v_add_u32_e32 v13, 0xfffffc10, v1
	v_or_b32_e32 v0, v11, v0
	v_lshl_or_b32 v1, v13, 12, v4
	v_cmp_gt_i32_e32 vcc, 1, v13
	v_cndmask_b32_e32 v0, v1, v0, vcc
	v_and_b32_e32 v1, 7, v0
	v_cmp_lt_i32_e32 vcc, 5, v1
	v_cmp_eq_u32_e64 s[2:3], 3, v1
	v_lshrrev_b32_e32 v10, 2, v0
	ds_read2_b32 v[0:1], v95 offset0:112 offset1:168
	s_or_b64 vcc, s[2:3], vcc
	v_addc_co_u32_e32 v10, vcc, 0, v10, vcc
	v_cmp_gt_i32_e32 vcc, 31, v13
	s_waitcnt lgkmcnt(0)
	v_lshrrev_b32_e32 v15, 16, v0
	v_cndmask_b32_e32 v14, v6, v10, vcc
	v_mul_f16_sdwa v10, v116, v15 dst_sel:DWORD dst_unused:UNUSED_PAD src0_sel:WORD_1 src1_sel:DWORD
	v_fma_f16 v10, v116, v0, v10
	v_cvt_f32_f16_e32 v10, v10
	v_cmp_ne_u32_e32 vcc, 0, v4
	v_cndmask_b32_e64 v4, 0, 1, vcc
	v_lshl_or_b32 v4, v4, 9, v6
	v_cvt_f64_f32_e32 v[10:11], v10
	v_cmp_eq_u32_e32 vcc, s11, v13
	v_cndmask_b32_e32 v4, v14, v4, vcc
	v_lshrrev_b32_e32 v5, 16, v5
	v_and_or_b32 v13, v5, s14, v4
	v_mul_f64 v[4:5], v[10:11], s[12:13]
	v_and_b32_e32 v10, 0xffff, v12
	v_lshl_or_b32 v12, v13, 16, v10
	v_add_co_u32_e32 v10, vcc, s6, v2
	v_addc_co_u32_e32 v11, vcc, v3, v9, vcc
	global_store_dword v[10:11], v12, off
	v_and_or_b32 v2, v5, s15, v4
	v_cmp_ne_u32_e32 vcc, 0, v2
	v_cndmask_b32_e64 v2, 0, 1, vcc
	v_lshrrev_b32_e32 v3, 8, v5
	v_and_or_b32 v12, v3, s10, v2
	v_bfe_u32 v3, v5, 20, 11
	v_sub_u32_e32 v4, 0x3f1, v3
	v_or_b32_e32 v2, 0x1000, v12
	v_med3_i32 v4, v4, 0, 13
	v_lshrrev_b32_e32 v13, v4, v2
	v_lshlrev_b32_e32 v4, v4, v13
	v_cmp_ne_u32_e32 vcc, v4, v2
	v_mul_f16_sdwa v0, v116, v0 dst_sel:DWORD dst_unused:UNUSED_PAD src0_sel:WORD_1 src1_sel:DWORD
	v_cndmask_b32_e64 v2, 0, 1, vcc
	v_fma_f16 v0, v116, v15, -v0
	v_or_b32_e32 v2, v13, v2
	v_add_u32_e32 v13, 0xfffffc10, v3
	v_cvt_f32_f16_e32 v0, v0
	v_lshl_or_b32 v3, v13, 12, v12
	v_cmp_gt_i32_e32 vcc, 1, v13
	v_cndmask_b32_e32 v2, v3, v2, vcc
	v_and_b32_e32 v3, 7, v2
	v_cmp_lt_i32_e32 vcc, 5, v3
	v_cmp_eq_u32_e64 s[2:3], 3, v3
	v_lshrrev_b32_e32 v4, 2, v2
	v_cvt_f64_f32_e32 v[2:3], v0
	s_or_b64 vcc, s[2:3], vcc
	v_addc_co_u32_e32 v0, vcc, 0, v4, vcc
	v_mul_f64 v[3:4], v[2:3], s[12:13]
	v_cmp_gt_i32_e32 vcc, 31, v13
	v_cndmask_b32_e32 v0, v6, v0, vcc
	v_cmp_ne_u32_e32 vcc, 0, v12
	v_cndmask_b32_e64 v2, 0, 1, vcc
	v_lshl_or_b32 v2, v2, 9, v6
	v_cmp_eq_u32_e32 vcc, s11, v13
	v_cndmask_b32_e32 v0, v0, v2, vcc
	v_lshrrev_b32_e32 v2, 16, v5
	v_and_or_b32 v0, v2, s14, v0
	v_and_or_b32 v2, v4, s15, v3
	v_cmp_ne_u32_e32 vcc, 0, v2
	v_cndmask_b32_e64 v2, 0, 1, vcc
	v_lshrrev_b32_e32 v3, 8, v4
	v_and_or_b32 v5, v3, s10, v2
	v_bfe_u32 v3, v4, 20, 11
	v_sub_u32_e32 v12, 0x3f1, v3
	v_or_b32_e32 v2, 0x1000, v5
	v_med3_i32 v12, v12, 0, 13
	v_lshrrev_b32_e32 v13, v12, v2
	v_lshlrev_b32_e32 v12, v12, v13
	v_cmp_ne_u32_e32 vcc, v12, v2
	v_cndmask_b32_e64 v2, 0, 1, vcc
	v_add_u32_e32 v12, 0xfffffc10, v3
	v_or_b32_e32 v2, v13, v2
	v_lshl_or_b32 v3, v12, 12, v5
	v_cmp_gt_i32_e32 vcc, 1, v12
	v_cndmask_b32_e32 v2, v3, v2, vcc
	v_and_b32_e32 v3, 7, v2
	v_cmp_lt_i32_e32 vcc, 5, v3
	v_cmp_eq_u32_e64 s[2:3], 3, v3
	v_lshrrev_b32_e32 v2, 2, v2
	s_or_b64 vcc, s[2:3], vcc
	v_addc_co_u32_e32 v13, vcc, 0, v2, vcc
	ds_read2_b32 v[2:3], v67 offset0:90 offset1:146
	v_cmp_gt_i32_e32 vcc, 31, v12
	v_cndmask_b32_e32 v13, v6, v13, vcc
	v_cmp_ne_u32_e32 vcc, 0, v5
	v_cndmask_b32_e64 v5, 0, 1, vcc
	s_waitcnt lgkmcnt(0)
	v_lshrrev_b32_e32 v14, 16, v2
	v_mul_f16_sdwa v15, v119, v14 dst_sel:DWORD dst_unused:UNUSED_PAD src0_sel:WORD_1 src1_sel:DWORD
	v_fma_f16 v15, v119, v2, v15
	v_cvt_f32_f16_e32 v15, v15
	v_lshl_or_b32 v5, v5, 9, v6
	v_cmp_eq_u32_e32 vcc, s11, v12
	v_cndmask_b32_e32 v5, v13, v5, vcc
	v_cvt_f64_f32_e32 v[12:13], v15
	v_lshrrev_b32_e32 v4, 16, v4
	v_and_or_b32 v15, v4, s14, v5
	v_and_b32_e32 v0, 0xffff, v0
	v_mul_f64 v[4:5], v[12:13], s[12:13]
	v_mov_b32_e32 v12, s4
	v_add_co_u32_e32 v10, vcc, s5, v10
	v_lshl_or_b32 v0, v15, 16, v0
	v_addc_co_u32_e32 v11, vcc, v11, v12, vcc
	global_store_dword v[10:11], v0, off
	v_and_or_b32 v0, v5, s15, v4
	v_cmp_ne_u32_e32 vcc, 0, v0
	v_cndmask_b32_e64 v0, 0, 1, vcc
	v_lshrrev_b32_e32 v4, 8, v5
	v_bfe_u32 v12, v5, 20, 11
	v_and_or_b32 v0, v4, s10, v0
	v_sub_u32_e32 v13, 0x3f1, v12
	v_or_b32_e32 v4, 0x1000, v0
	v_med3_i32 v13, v13, 0, 13
	v_lshrrev_b32_e32 v15, v13, v4
	v_lshlrev_b32_e32 v13, v13, v15
	v_cmp_ne_u32_e32 vcc, v13, v4
	v_mul_f16_sdwa v2, v119, v2 dst_sel:DWORD dst_unused:UNUSED_PAD src0_sel:WORD_1 src1_sel:DWORD
	v_cndmask_b32_e64 v4, 0, 1, vcc
	v_fma_f16 v2, v119, v14, -v2
	v_or_b32_e32 v4, v15, v4
	v_add_u32_e32 v15, 0xfffffc10, v12
	v_cvt_f32_f16_e32 v2, v2
	v_lshl_or_b32 v12, v15, 12, v0
	v_cmp_gt_i32_e32 vcc, 1, v15
	v_cndmask_b32_e32 v4, v12, v4, vcc
	v_and_b32_e32 v12, 7, v4
	v_cmp_lt_i32_e32 vcc, 5, v12
	v_cmp_eq_u32_e64 s[2:3], 3, v12
	v_cvt_f64_f32_e32 v[12:13], v2
	v_lshrrev_b32_e32 v4, 2, v4
	s_or_b64 vcc, s[2:3], vcc
	v_addc_co_u32_e32 v2, vcc, 0, v4, vcc
	v_mul_f64 v[12:13], v[12:13], s[12:13]
	v_cmp_gt_i32_e32 vcc, 31, v15
	v_cndmask_b32_e32 v2, v6, v2, vcc
	v_cmp_ne_u32_e32 vcc, 0, v0
	v_cndmask_b32_e64 v0, 0, 1, vcc
	v_lshl_or_b32 v0, v0, 9, v6
	v_cmp_eq_u32_e32 vcc, s11, v15
	v_cndmask_b32_e32 v0, v2, v0, vcc
	v_lshrrev_b32_e32 v2, 16, v5
	v_and_or_b32 v0, v2, s14, v0
	v_and_or_b32 v2, v13, s15, v12
	v_cmp_ne_u32_e32 vcc, 0, v2
	v_cndmask_b32_e64 v2, 0, 1, vcc
	v_lshrrev_b32_e32 v4, 8, v13
	v_bfe_u32 v5, v13, 20, 11
	v_and_or_b32 v2, v4, s10, v2
	v_sub_u32_e32 v12, 0x3f1, v5
	v_or_b32_e32 v4, 0x1000, v2
	v_med3_i32 v12, v12, 0, 13
	v_lshrrev_b32_e32 v14, v12, v4
	v_lshlrev_b32_e32 v12, v12, v14
	v_cmp_ne_u32_e32 vcc, v12, v4
	v_cndmask_b32_e64 v4, 0, 1, vcc
	v_add_u32_e32 v12, 0xfffffc10, v5
	v_or_b32_e32 v4, v14, v4
	v_lshl_or_b32 v5, v12, 12, v2
	v_cmp_gt_i32_e32 vcc, 1, v12
	v_cndmask_b32_e32 v4, v5, v4, vcc
	v_and_b32_e32 v5, 7, v4
	v_cmp_lt_i32_e32 vcc, 5, v5
	v_cmp_eq_u32_e64 s[2:3], 3, v5
	v_lshrrev_b32_e32 v14, 2, v4
	ds_read2_b32 v[4:5], v65 offset0:68 offset1:124
	s_or_b64 vcc, s[2:3], vcc
	v_addc_co_u32_e32 v14, vcc, 0, v14, vcc
	v_cmp_gt_i32_e32 vcc, 31, v12
	s_waitcnt lgkmcnt(0)
	v_lshrrev_b32_e32 v17, 16, v4
	v_cndmask_b32_e32 v16, v6, v14, vcc
	v_mul_f16_sdwa v14, v118, v17 dst_sel:DWORD dst_unused:UNUSED_PAD src0_sel:WORD_1 src1_sel:DWORD
	v_fma_f16 v14, v118, v4, v14
	v_cvt_f32_f16_e32 v14, v14
	v_cmp_ne_u32_e32 vcc, 0, v2
	v_cndmask_b32_e64 v2, 0, 1, vcc
	v_lshl_or_b32 v2, v2, 9, v6
	v_cvt_f64_f32_e32 v[14:15], v14
	v_cmp_eq_u32_e32 vcc, s11, v12
	v_cndmask_b32_e32 v2, v16, v2, vcc
	v_lshrrev_b32_e32 v12, 16, v13
	v_and_or_b32 v2, v12, s14, v2
	v_mul_f64 v[12:13], v[14:15], s[12:13]
	v_and_b32_e32 v0, 0xffff, v0
	v_add_co_u32_e32 v10, vcc, s6, v10
	v_lshl_or_b32 v0, v2, 16, v0
	v_addc_co_u32_e32 v11, vcc, v11, v9, vcc
	global_store_dword v[10:11], v0, off
	v_and_or_b32 v0, v13, s15, v12
	v_cmp_ne_u32_e32 vcc, 0, v0
	v_cndmask_b32_e64 v0, 0, 1, vcc
	v_lshrrev_b32_e32 v2, 8, v13
	v_bfe_u32 v12, v13, 20, 11
	v_and_or_b32 v0, v2, s10, v0
	v_sub_u32_e32 v14, 0x3f1, v12
	v_or_b32_e32 v2, 0x1000, v0
	v_med3_i32 v14, v14, 0, 13
	v_lshrrev_b32_e32 v15, v14, v2
	v_lshlrev_b32_e32 v14, v14, v15
	v_mul_f16_sdwa v4, v118, v4 dst_sel:DWORD dst_unused:UNUSED_PAD src0_sel:WORD_1 src1_sel:DWORD
	v_cmp_ne_u32_e32 vcc, v14, v2
	v_fma_f16 v4, v118, v17, -v4
	v_cndmask_b32_e64 v2, 0, 1, vcc
	v_add_u32_e32 v12, 0xfffffc10, v12
	v_cvt_f32_f16_e32 v4, v4
	v_or_b32_e32 v2, v15, v2
	v_lshl_or_b32 v14, v12, 12, v0
	v_cmp_gt_i32_e32 vcc, 1, v12
	v_cndmask_b32_e32 v2, v14, v2, vcc
	v_and_b32_e32 v14, 7, v2
	v_cmp_lt_i32_e32 vcc, 5, v14
	v_cmp_eq_u32_e64 s[2:3], 3, v14
	v_cvt_f64_f32_e32 v[14:15], v4
	v_lshrrev_b32_e32 v2, 2, v2
	s_or_b64 vcc, s[2:3], vcc
	v_addc_co_u32_e32 v2, vcc, 0, v2, vcc
	v_mul_f64 v[14:15], v[14:15], s[12:13]
	v_cmp_gt_i32_e32 vcc, 31, v12
	v_cndmask_b32_e32 v2, v6, v2, vcc
	v_cmp_ne_u32_e32 vcc, 0, v0
	v_cndmask_b32_e64 v0, 0, 1, vcc
	v_lshl_or_b32 v0, v0, 9, v6
	v_cmp_eq_u32_e32 vcc, s11, v12
	v_cndmask_b32_e32 v0, v2, v0, vcc
	v_lshrrev_b32_e32 v2, 16, v13
	v_and_or_b32 v0, v2, s14, v0
	v_and_or_b32 v2, v15, s15, v14
	v_cmp_ne_u32_e32 vcc, 0, v2
	v_cndmask_b32_e64 v2, 0, 1, vcc
	v_lshrrev_b32_e32 v4, 8, v15
	v_bfe_u32 v12, v15, 20, 11
	v_and_or_b32 v2, v4, s10, v2
	v_sub_u32_e32 v13, 0x3f1, v12
	v_or_b32_e32 v4, 0x1000, v2
	v_med3_i32 v13, v13, 0, 13
	v_lshrrev_b32_e32 v14, v13, v4
	v_lshlrev_b32_e32 v13, v13, v14
	v_cmp_ne_u32_e32 vcc, v13, v4
	v_cndmask_b32_e64 v4, 0, 1, vcc
	v_or_b32_e32 v4, v14, v4
	v_add_u32_e32 v14, 0xfffffc10, v12
	v_lshl_or_b32 v12, v14, 12, v2
	v_cmp_gt_i32_e32 vcc, 1, v14
	v_cndmask_b32_e32 v4, v12, v4, vcc
	v_and_b32_e32 v12, 7, v4
	v_cmp_lt_i32_e32 vcc, 5, v12
	v_cmp_eq_u32_e64 s[2:3], 3, v12
	ds_read2_b32 v[12:13], v64 offset0:46 offset1:102
	v_lshrrev_b32_e32 v4, 2, v4
	s_or_b64 vcc, s[2:3], vcc
	v_addc_co_u32_e32 v4, vcc, 0, v4, vcc
	s_waitcnt lgkmcnt(0)
	v_lshrrev_b32_e32 v18, 16, v12
	v_mul_f16_sdwa v16, v117, v18 dst_sel:DWORD dst_unused:UNUSED_PAD src0_sel:WORD_1 src1_sel:DWORD
	v_fma_f16 v16, v117, v12, v16
	v_cvt_f32_f16_e32 v16, v16
	v_cmp_gt_i32_e32 vcc, 31, v14
	v_cndmask_b32_e32 v4, v6, v4, vcc
	v_cmp_ne_u32_e32 vcc, 0, v2
	v_cvt_f64_f32_e32 v[16:17], v16
	v_cndmask_b32_e64 v2, 0, 1, vcc
	v_lshl_or_b32 v2, v2, 9, v6
	v_cmp_eq_u32_e32 vcc, s11, v14
	v_cndmask_b32_e32 v2, v4, v2, vcc
	v_lshrrev_b32_e32 v4, 16, v15
	v_mul_f64 v[14:15], v[16:17], s[12:13]
	v_and_or_b32 v2, v4, s14, v2
	v_and_b32_e32 v0, 0xffff, v0
	v_add_co_u32_e32 v10, vcc, s6, v10
	v_lshl_or_b32 v0, v2, 16, v0
	v_addc_co_u32_e32 v11, vcc, v11, v9, vcc
	global_store_dword v[10:11], v0, off
	v_and_or_b32 v0, v15, s15, v14
	v_cmp_ne_u32_e32 vcc, 0, v0
	v_cndmask_b32_e64 v0, 0, 1, vcc
	v_lshrrev_b32_e32 v2, 8, v15
	v_bfe_u32 v4, v15, 20, 11
	v_and_or_b32 v0, v2, s10, v0
	v_sub_u32_e32 v14, 0x3f1, v4
	v_mul_f16_sdwa v12, v117, v12 dst_sel:DWORD dst_unused:UNUSED_PAD src0_sel:WORD_1 src1_sel:DWORD
	v_or_b32_e32 v2, 0x1000, v0
	v_med3_i32 v14, v14, 0, 13
	v_fma_f16 v12, v117, v18, -v12
	v_lshrrev_b32_e32 v16, v14, v2
	v_cvt_f32_f16_e32 v12, v12
	v_lshlrev_b32_e32 v14, v14, v16
	v_cmp_ne_u32_e32 vcc, v14, v2
	v_cndmask_b32_e64 v2, 0, 1, vcc
	v_or_b32_e32 v2, v16, v2
	v_add_u32_e32 v4, 0xfffffc10, v4
	v_cvt_f64_f32_e32 v[16:17], v12
	v_lshl_or_b32 v14, v4, 12, v0
	v_cmp_gt_i32_e32 vcc, 1, v4
	v_cndmask_b32_e32 v2, v14, v2, vcc
	v_and_b32_e32 v14, 7, v2
	v_cmp_lt_i32_e32 vcc, 5, v14
	v_cmp_eq_u32_e64 s[2:3], 3, v14
	v_mul_f64 v[16:17], v[16:17], s[12:13]
	v_lshrrev_b32_e32 v2, 2, v2
	s_or_b64 vcc, s[2:3], vcc
	v_addc_co_u32_e32 v2, vcc, 0, v2, vcc
	v_cmp_gt_i32_e32 vcc, 31, v4
	v_cndmask_b32_e32 v2, v6, v2, vcc
	v_cmp_ne_u32_e32 vcc, 0, v0
	v_cndmask_b32_e64 v0, 0, 1, vcc
	v_lshl_or_b32 v0, v0, 9, v6
	v_cmp_eq_u32_e32 vcc, s11, v4
	v_cndmask_b32_e32 v0, v2, v0, vcc
	v_lshrrev_b32_e32 v2, 16, v15
	v_and_or_b32 v0, v2, s14, v0
	v_and_or_b32 v2, v17, s15, v16
	v_cmp_ne_u32_e32 vcc, 0, v2
	v_cndmask_b32_e64 v2, 0, 1, vcc
	v_lshrrev_b32_e32 v4, 8, v17
	v_bfe_u32 v12, v17, 20, 11
	v_and_or_b32 v2, v4, s10, v2
	v_sub_u32_e32 v14, 0x3f1, v12
	v_or_b32_e32 v4, 0x1000, v2
	v_med3_i32 v14, v14, 0, 13
	v_lshrrev_b32_e32 v15, v14, v4
	v_lshlrev_b32_e32 v14, v14, v15
	v_cmp_ne_u32_e32 vcc, v14, v4
	v_cndmask_b32_e64 v4, 0, 1, vcc
	v_add_u32_e32 v12, 0xfffffc10, v12
	v_or_b32_e32 v4, v15, v4
	v_lshl_or_b32 v14, v12, 12, v2
	v_cmp_gt_i32_e32 vcc, 1, v12
	v_cndmask_b32_e32 v4, v14, v4, vcc
	v_and_b32_e32 v14, 7, v4
	v_lshrrev_b32_e32 v16, 16, v1
	v_cmp_lt_i32_e32 vcc, 5, v14
	v_cmp_eq_u32_e64 s[2:3], 3, v14
	v_mul_f16_sdwa v14, v113, v16 dst_sel:DWORD dst_unused:UNUSED_PAD src0_sel:WORD_1 src1_sel:DWORD
	v_fma_f16 v14, v113, v1, v14
	v_cvt_f32_f16_e32 v14, v14
	v_lshrrev_b32_e32 v4, 2, v4
	s_or_b64 vcc, s[2:3], vcc
	v_addc_co_u32_e32 v4, vcc, 0, v4, vcc
	v_cvt_f64_f32_e32 v[14:15], v14
	v_cmp_gt_i32_e32 vcc, 31, v12
	v_cndmask_b32_e32 v4, v6, v4, vcc
	v_cmp_ne_u32_e32 vcc, 0, v2
	v_mul_f64 v[14:15], v[14:15], s[12:13]
	v_cndmask_b32_e64 v2, 0, 1, vcc
	v_lshl_or_b32 v2, v2, 9, v6
	v_cmp_eq_u32_e32 vcc, s11, v12
	v_cndmask_b32_e32 v2, v4, v2, vcc
	v_lshrrev_b32_e32 v4, 16, v17
	v_and_or_b32 v2, v4, s14, v2
	v_and_b32_e32 v0, 0xffff, v0
	v_add_co_u32_e32 v10, vcc, s6, v10
	v_lshl_or_b32 v0, v2, 16, v0
	v_addc_co_u32_e32 v11, vcc, v11, v9, vcc
	global_store_dword v[10:11], v0, off
	v_and_or_b32 v0, v15, s15, v14
	v_cmp_ne_u32_e32 vcc, 0, v0
	v_cndmask_b32_e64 v0, 0, 1, vcc
	v_lshrrev_b32_e32 v2, 8, v15
	v_bfe_u32 v4, v15, 20, 11
	v_and_or_b32 v2, v2, s10, v0
	v_sub_u32_e32 v12, 0x3f1, v4
	v_or_b32_e32 v0, 0x1000, v2
	v_med3_i32 v12, v12, 0, 13
	v_lshrrev_b32_e32 v14, v12, v0
	v_lshlrev_b32_e32 v12, v12, v14
	v_mul_f16_sdwa v1, v113, v1 dst_sel:DWORD dst_unused:UNUSED_PAD src0_sel:WORD_1 src1_sel:DWORD
	v_cmp_ne_u32_e32 vcc, v12, v0
	v_fma_f16 v1, v113, v16, -v1
	v_cndmask_b32_e64 v0, 0, 1, vcc
	v_add_u32_e32 v4, 0xfffffc10, v4
	v_cvt_f32_f16_e32 v1, v1
	v_or_b32_e32 v0, v14, v0
	v_lshl_or_b32 v12, v4, 12, v2
	v_cmp_gt_i32_e32 vcc, 1, v4
	v_cndmask_b32_e32 v0, v12, v0, vcc
	v_and_b32_e32 v12, 7, v0
	v_cmp_lt_i32_e32 vcc, 5, v12
	v_cmp_eq_u32_e64 s[2:3], 3, v12
	v_lshrrev_b32_e32 v12, 2, v0
	v_cvt_f64_f32_e32 v[0:1], v1
	s_or_b64 vcc, s[2:3], vcc
	v_addc_co_u32_e32 v12, vcc, 0, v12, vcc
	v_mul_f64 v[0:1], v[0:1], s[12:13]
	v_cmp_gt_i32_e32 vcc, 31, v4
	v_cndmask_b32_e32 v12, v6, v12, vcc
	v_cmp_ne_u32_e32 vcc, 0, v2
	v_cndmask_b32_e64 v2, 0, 1, vcc
	v_lshl_or_b32 v2, v2, 9, v6
	v_cmp_eq_u32_e32 vcc, s11, v4
	v_cndmask_b32_e32 v2, v12, v2, vcc
	v_and_or_b32 v0, v1, s15, v0
	v_lshrrev_b32_e32 v4, 16, v15
	v_cmp_ne_u32_e32 vcc, 0, v0
	v_and_or_b32 v2, v4, s14, v2
	v_cndmask_b32_e64 v0, 0, 1, vcc
	v_lshrrev_b32_e32 v4, 8, v1
	v_bfe_u32 v12, v1, 20, 11
	v_and_or_b32 v0, v4, s10, v0
	v_sub_u32_e32 v14, 0x3f1, v12
	v_or_b32_e32 v4, 0x1000, v0
	v_med3_i32 v14, v14, 0, 13
	v_lshrrev_b32_e32 v15, v14, v4
	v_lshlrev_b32_e32 v14, v14, v15
	v_cmp_ne_u32_e32 vcc, v14, v4
	v_cndmask_b32_e64 v4, 0, 1, vcc
	v_add_u32_e32 v12, 0xfffffc10, v12
	v_or_b32_e32 v4, v15, v4
	v_lshl_or_b32 v14, v12, 12, v0
	v_cmp_gt_i32_e32 vcc, 1, v12
	v_cndmask_b32_e32 v4, v14, v4, vcc
	v_and_b32_e32 v14, 7, v4
	v_lshrrev_b32_e32 v16, 16, v3
	v_cmp_lt_i32_e32 vcc, 5, v14
	v_cmp_eq_u32_e64 s[2:3], 3, v14
	v_mul_f16_sdwa v14, v115, v16 dst_sel:DWORD dst_unused:UNUSED_PAD src0_sel:WORD_1 src1_sel:DWORD
	v_fma_f16 v14, v115, v3, v14
	v_cvt_f32_f16_e32 v14, v14
	v_lshrrev_b32_e32 v4, 2, v4
	s_or_b64 vcc, s[2:3], vcc
	v_addc_co_u32_e32 v4, vcc, 0, v4, vcc
	v_cmp_gt_i32_e32 vcc, 31, v12
	v_cndmask_b32_e32 v4, v6, v4, vcc
	v_cmp_ne_u32_e32 vcc, 0, v0
	v_cvt_f64_f32_e32 v[14:15], v14
	v_cndmask_b32_e64 v0, 0, 1, vcc
	v_lshl_or_b32 v0, v0, 9, v6
	v_cmp_eq_u32_e32 vcc, s11, v12
	v_cndmask_b32_e32 v0, v4, v0, vcc
	v_lshrrev_b32_e32 v1, 16, v1
	v_and_or_b32 v4, v1, s14, v0
	v_mul_f64 v[0:1], v[14:15], s[12:13]
	v_and_b32_e32 v2, 0xffff, v2
	v_lshl_or_b32 v2, v4, 16, v2
	v_mov_b32_e32 v4, s4
	v_add_co_u32_e32 v10, vcc, s5, v10
	v_addc_co_u32_e32 v11, vcc, v11, v4, vcc
	v_and_or_b32 v0, v1, s15, v0
	v_cmp_ne_u32_e32 vcc, 0, v0
	global_store_dword v[10:11], v2, off
	v_cndmask_b32_e64 v0, 0, 1, vcc
	v_lshrrev_b32_e32 v2, 8, v1
	v_bfe_u32 v4, v1, 20, 11
	v_and_or_b32 v0, v2, s10, v0
	v_sub_u32_e32 v12, 0x3f1, v4
	v_or_b32_e32 v2, 0x1000, v0
	v_med3_i32 v12, v12, 0, 13
	v_lshrrev_b32_e32 v14, v12, v2
	v_lshlrev_b32_e32 v12, v12, v14
	v_mul_f16_sdwa v3, v115, v3 dst_sel:DWORD dst_unused:UNUSED_PAD src0_sel:WORD_1 src1_sel:DWORD
	v_cmp_ne_u32_e32 vcc, v12, v2
	v_fma_f16 v3, v115, v16, -v3
	v_cndmask_b32_e64 v2, 0, 1, vcc
	v_add_u32_e32 v4, 0xfffffc10, v4
	v_cvt_f32_f16_e32 v3, v3
	v_or_b32_e32 v2, v14, v2
	v_lshl_or_b32 v12, v4, 12, v0
	v_cmp_gt_i32_e32 vcc, 1, v4
	v_cndmask_b32_e32 v2, v12, v2, vcc
	v_and_b32_e32 v12, 7, v2
	v_cmp_lt_i32_e32 vcc, 5, v12
	v_cmp_eq_u32_e64 s[2:3], 3, v12
	v_lshrrev_b32_e32 v12, 2, v2
	v_cvt_f64_f32_e32 v[2:3], v3
	s_or_b64 vcc, s[2:3], vcc
	v_addc_co_u32_e32 v12, vcc, 0, v12, vcc
	v_mul_f64 v[2:3], v[2:3], s[12:13]
	v_cmp_gt_i32_e32 vcc, 31, v4
	v_cndmask_b32_e32 v12, v6, v12, vcc
	v_cmp_ne_u32_e32 vcc, 0, v0
	v_cndmask_b32_e64 v0, 0, 1, vcc
	v_lshl_or_b32 v0, v0, 9, v6
	v_cmp_eq_u32_e32 vcc, s11, v4
	v_cndmask_b32_e32 v0, v12, v0, vcc
	v_lshrrev_b32_e32 v1, 16, v1
	v_and_or_b32 v4, v1, s14, v0
	v_and_or_b32 v0, v3, s15, v2
	v_cmp_ne_u32_e32 vcc, 0, v0
	v_cndmask_b32_e64 v0, 0, 1, vcc
	v_lshrrev_b32_e32 v1, 8, v3
	v_bfe_u32 v2, v3, 20, 11
	v_and_or_b32 v0, v1, s10, v0
	v_sub_u32_e32 v12, 0x3f1, v2
	v_or_b32_e32 v1, 0x1000, v0
	v_med3_i32 v12, v12, 0, 13
	v_lshrrev_b32_e32 v14, v12, v1
	v_lshlrev_b32_e32 v12, v12, v14
	v_cmp_ne_u32_e32 vcc, v12, v1
	v_cndmask_b32_e64 v1, 0, 1, vcc
	v_add_u32_e32 v2, 0xfffffc10, v2
	v_or_b32_e32 v1, v14, v1
	v_lshl_or_b32 v12, v2, 12, v0
	v_cmp_gt_i32_e32 vcc, 1, v2
	v_cndmask_b32_e32 v1, v12, v1, vcc
	v_and_b32_e32 v12, 7, v1
	v_cmp_lt_i32_e32 vcc, 5, v12
	v_cmp_eq_u32_e64 s[2:3], 3, v12
	v_lshrrev_b32_e32 v1, 2, v1
	s_or_b64 vcc, s[2:3], vcc
	v_addc_co_u32_e32 v1, vcc, 0, v1, vcc
	v_cmp_gt_i32_e32 vcc, 31, v2
	v_lshrrev_b32_e32 v14, 16, v5
	v_cndmask_b32_e32 v12, v6, v1, vcc
	v_mul_f16_sdwa v1, v114, v14 dst_sel:DWORD dst_unused:UNUSED_PAD src0_sel:WORD_1 src1_sel:DWORD
	v_fma_f16 v1, v114, v5, v1
	v_cvt_f32_f16_e32 v1, v1
	v_cmp_ne_u32_e32 vcc, 0, v0
	v_cndmask_b32_e64 v0, 0, 1, vcc
	v_lshl_or_b32 v15, v0, 9, v6
	v_cvt_f64_f32_e32 v[0:1], v1
	v_cmp_eq_u32_e32 vcc, s11, v2
	v_cndmask_b32_e32 v2, v12, v15, vcc
	v_lshrrev_b32_e32 v3, 16, v3
	v_mul_f64 v[0:1], v[0:1], s[12:13]
	v_and_or_b32 v2, v3, s14, v2
	v_and_b32_e32 v3, 0xffff, v4
	v_lshl_or_b32 v4, v2, 16, v3
	v_add_co_u32_e32 v2, vcc, s6, v10
	v_addc_co_u32_e32 v3, vcc, v11, v9, vcc
	v_and_or_b32 v0, v1, s15, v0
	v_cmp_ne_u32_e32 vcc, 0, v0
	global_store_dword v[2:3], v4, off
	v_cndmask_b32_e64 v0, 0, 1, vcc
	v_lshrrev_b32_e32 v4, 8, v1
	v_bfe_u32 v10, v1, 20, 11
	v_and_or_b32 v0, v4, s10, v0
	v_sub_u32_e32 v11, 0x3f1, v10
	v_or_b32_e32 v4, 0x1000, v0
	v_med3_i32 v11, v11, 0, 13
	v_lshrrev_b32_e32 v12, v11, v4
	v_lshlrev_b32_e32 v11, v11, v12
	v_mul_f16_sdwa v5, v114, v5 dst_sel:DWORD dst_unused:UNUSED_PAD src0_sel:WORD_1 src1_sel:DWORD
	v_cmp_ne_u32_e32 vcc, v11, v4
	v_fma_f16 v5, v114, v14, -v5
	v_cndmask_b32_e64 v4, 0, 1, vcc
	v_add_u32_e32 v10, 0xfffffc10, v10
	v_cvt_f32_f16_e32 v5, v5
	v_or_b32_e32 v4, v12, v4
	v_lshl_or_b32 v11, v10, 12, v0
	v_cmp_gt_i32_e32 vcc, 1, v10
	v_cndmask_b32_e32 v4, v11, v4, vcc
	v_and_b32_e32 v11, 7, v4
	v_cmp_lt_i32_e32 vcc, 5, v11
	v_cmp_eq_u32_e64 s[2:3], 3, v11
	v_lshrrev_b32_e32 v11, 2, v4
	v_cvt_f64_f32_e32 v[4:5], v5
	s_or_b64 vcc, s[2:3], vcc
	v_addc_co_u32_e32 v11, vcc, 0, v11, vcc
	v_mul_f64 v[4:5], v[4:5], s[12:13]
	v_cmp_gt_i32_e32 vcc, 31, v10
	v_cndmask_b32_e32 v11, v6, v11, vcc
	v_cmp_ne_u32_e32 vcc, 0, v0
	v_cndmask_b32_e64 v0, 0, 1, vcc
	v_lshl_or_b32 v0, v0, 9, v6
	v_cmp_eq_u32_e32 vcc, s11, v10
	v_cndmask_b32_e32 v0, v11, v0, vcc
	v_lshrrev_b32_e32 v1, 16, v1
	v_and_or_b32 v10, v1, s14, v0
	v_and_or_b32 v0, v5, s15, v4
	v_cmp_ne_u32_e32 vcc, 0, v0
	v_cndmask_b32_e64 v0, 0, 1, vcc
	v_lshrrev_b32_e32 v1, 8, v5
	v_bfe_u32 v4, v5, 20, 11
	v_and_or_b32 v0, v1, s10, v0
	v_sub_u32_e32 v11, 0x3f1, v4
	v_or_b32_e32 v1, 0x1000, v0
	v_med3_i32 v11, v11, 0, 13
	v_lshrrev_b32_e32 v12, v11, v1
	v_lshlrev_b32_e32 v11, v11, v12
	v_cmp_ne_u32_e32 vcc, v11, v1
	v_cndmask_b32_e64 v1, 0, 1, vcc
	v_add_u32_e32 v4, 0xfffffc10, v4
	v_or_b32_e32 v1, v12, v1
	v_lshl_or_b32 v11, v4, 12, v0
	v_cmp_gt_i32_e32 vcc, 1, v4
	v_cndmask_b32_e32 v1, v11, v1, vcc
	v_and_b32_e32 v11, 7, v1
	v_cmp_lt_i32_e32 vcc, 5, v11
	v_cmp_eq_u32_e64 s[2:3], 3, v11
	v_lshrrev_b32_e32 v1, 2, v1
	s_or_b64 vcc, s[2:3], vcc
	v_addc_co_u32_e32 v1, vcc, 0, v1, vcc
	v_cmp_gt_i32_e32 vcc, 31, v4
	v_lshrrev_b32_e32 v12, 16, v13
	v_cndmask_b32_e32 v11, v6, v1, vcc
	v_mul_f16_sdwa v1, v112, v12 dst_sel:DWORD dst_unused:UNUSED_PAD src0_sel:WORD_1 src1_sel:DWORD
	v_fma_f16 v1, v112, v13, v1
	v_cvt_f32_f16_e32 v1, v1
	v_cmp_ne_u32_e32 vcc, 0, v0
	v_cndmask_b32_e64 v0, 0, 1, vcc
	v_lshl_or_b32 v14, v0, 9, v6
	v_cvt_f64_f32_e32 v[0:1], v1
	v_cmp_eq_u32_e32 vcc, s11, v4
	v_cndmask_b32_e32 v4, v11, v14, vcc
	v_lshrrev_b32_e32 v5, 16, v5
	v_mul_f64 v[0:1], v[0:1], s[12:13]
	v_add_co_u32_e32 v2, vcc, s6, v2
	v_and_or_b32 v4, v5, s14, v4
	v_and_b32_e32 v5, 0xffff, v10
	v_addc_co_u32_e32 v3, vcc, v3, v9, vcc
	v_lshl_or_b32 v4, v4, 16, v5
	v_and_or_b32 v0, v1, s15, v0
	v_cmp_ne_u32_e32 vcc, 0, v0
	global_store_dword v[2:3], v4, off
	v_cndmask_b32_e64 v0, 0, 1, vcc
	v_lshrrev_b32_e32 v4, 8, v1
	v_bfe_u32 v5, v1, 20, 11
	v_and_or_b32 v0, v4, s10, v0
	v_sub_u32_e32 v10, 0x3f1, v5
	v_or_b32_e32 v4, 0x1000, v0
	v_med3_i32 v10, v10, 0, 13
	v_lshrrev_b32_e32 v11, v10, v4
	v_lshlrev_b32_e32 v10, v10, v11
	v_cmp_ne_u32_e32 vcc, v10, v4
	v_cndmask_b32_e64 v4, 0, 1, vcc
	v_or_b32_e32 v4, v11, v4
	v_mul_f16_sdwa v11, v112, v13 dst_sel:DWORD dst_unused:UNUSED_PAD src0_sel:WORD_1 src1_sel:DWORD
	v_fma_f16 v11, v112, v12, -v11
	v_add_u32_e32 v10, 0xfffffc10, v5
	v_cvt_f32_f16_e32 v11, v11
	v_lshl_or_b32 v5, v10, 12, v0
	v_cmp_gt_i32_e32 vcc, 1, v10
	v_cndmask_b32_e32 v4, v5, v4, vcc
	v_and_b32_e32 v5, 7, v4
	v_cmp_lt_i32_e32 vcc, 5, v5
	v_cmp_eq_u32_e64 s[2:3], 3, v5
	v_lshrrev_b32_e32 v12, 2, v4
	v_cvt_f64_f32_e32 v[4:5], v11
	s_or_b64 vcc, s[2:3], vcc
	v_addc_co_u32_e32 v11, vcc, 0, v12, vcc
	v_mul_f64 v[4:5], v[4:5], s[12:13]
	v_cmp_gt_i32_e32 vcc, 31, v10
	v_cndmask_b32_e32 v11, v6, v11, vcc
	v_cmp_ne_u32_e32 vcc, 0, v0
	v_cndmask_b32_e64 v0, 0, 1, vcc
	v_lshl_or_b32 v0, v0, 9, v6
	v_cmp_eq_u32_e32 vcc, s11, v10
	v_cndmask_b32_e32 v0, v11, v0, vcc
	v_lshrrev_b32_e32 v1, 16, v1
	v_and_or_b32 v12, v1, s14, v0
	v_and_or_b32 v0, v5, s15, v4
	v_cmp_ne_u32_e32 vcc, 0, v0
	v_cndmask_b32_e64 v0, 0, 1, vcc
	v_lshrrev_b32_e32 v1, 8, v5
	v_and_or_b32 v4, v1, s10, v0
	v_bfe_u32 v1, v5, 20, 11
	v_sub_u32_e32 v10, 0x3f1, v1
	v_or_b32_e32 v0, 0x1000, v4
	v_med3_i32 v10, v10, 0, 13
	v_lshrrev_b32_e32 v11, v10, v0
	v_lshlrev_b32_e32 v10, v10, v11
	v_cmp_ne_u32_e32 vcc, v10, v0
	v_cndmask_b32_e64 v0, 0, 1, vcc
	v_add_u32_e32 v13, 0xfffffc10, v1
	v_or_b32_e32 v0, v11, v0
	v_lshl_or_b32 v1, v13, 12, v4
	v_cmp_gt_i32_e32 vcc, 1, v13
	v_cndmask_b32_e32 v0, v1, v0, vcc
	v_and_b32_e32 v1, 7, v0
	v_cmp_lt_i32_e32 vcc, 5, v1
	v_cmp_eq_u32_e64 s[2:3], 3, v1
	v_lshrrev_b32_e32 v10, 2, v0
	ds_read2_b32 v[0:1], v66 offset0:96 offset1:152
	s_or_b64 vcc, s[2:3], vcc
	v_addc_co_u32_e32 v10, vcc, 0, v10, vcc
	v_cmp_gt_i32_e32 vcc, 31, v13
	s_waitcnt lgkmcnt(0)
	v_lshrrev_b32_e32 v15, 16, v0
	v_cndmask_b32_e32 v14, v6, v10, vcc
	v_mul_f16_sdwa v10, v110, v15 dst_sel:DWORD dst_unused:UNUSED_PAD src0_sel:WORD_1 src1_sel:DWORD
	v_fma_f16 v10, v110, v0, v10
	v_cvt_f32_f16_e32 v10, v10
	v_cmp_ne_u32_e32 vcc, 0, v4
	v_cndmask_b32_e64 v4, 0, 1, vcc
	v_lshl_or_b32 v4, v4, 9, v6
	v_cvt_f64_f32_e32 v[10:11], v10
	v_cmp_eq_u32_e32 vcc, s11, v13
	v_cndmask_b32_e32 v4, v14, v4, vcc
	v_lshrrev_b32_e32 v5, 16, v5
	v_and_or_b32 v13, v5, s14, v4
	v_mul_f64 v[4:5], v[10:11], s[12:13]
	v_and_b32_e32 v10, 0xffff, v12
	v_lshl_or_b32 v12, v13, 16, v10
	v_add_co_u32_e32 v10, vcc, s6, v2
	v_addc_co_u32_e32 v11, vcc, v3, v9, vcc
	global_store_dword v[10:11], v12, off
	v_and_or_b32 v2, v5, s15, v4
	v_cmp_ne_u32_e32 vcc, 0, v2
	v_cndmask_b32_e64 v2, 0, 1, vcc
	v_lshrrev_b32_e32 v3, 8, v5
	v_and_or_b32 v12, v3, s10, v2
	v_bfe_u32 v3, v5, 20, 11
	v_sub_u32_e32 v4, 0x3f1, v3
	v_or_b32_e32 v2, 0x1000, v12
	v_med3_i32 v4, v4, 0, 13
	v_lshrrev_b32_e32 v13, v4, v2
	v_lshlrev_b32_e32 v4, v4, v13
	v_cmp_ne_u32_e32 vcc, v4, v2
	v_mul_f16_sdwa v0, v110, v0 dst_sel:DWORD dst_unused:UNUSED_PAD src0_sel:WORD_1 src1_sel:DWORD
	v_cndmask_b32_e64 v2, 0, 1, vcc
	v_fma_f16 v0, v110, v15, -v0
	v_or_b32_e32 v2, v13, v2
	v_add_u32_e32 v13, 0xfffffc10, v3
	v_cvt_f32_f16_e32 v0, v0
	v_lshl_or_b32 v3, v13, 12, v12
	v_cmp_gt_i32_e32 vcc, 1, v13
	v_cndmask_b32_e32 v2, v3, v2, vcc
	v_and_b32_e32 v3, 7, v2
	v_cmp_lt_i32_e32 vcc, 5, v3
	v_cmp_eq_u32_e64 s[2:3], 3, v3
	v_lshrrev_b32_e32 v4, 2, v2
	v_cvt_f64_f32_e32 v[2:3], v0
	s_or_b64 vcc, s[2:3], vcc
	v_addc_co_u32_e32 v0, vcc, 0, v4, vcc
	v_mul_f64 v[3:4], v[2:3], s[12:13]
	v_cmp_gt_i32_e32 vcc, 31, v13
	v_cndmask_b32_e32 v0, v6, v0, vcc
	v_cmp_ne_u32_e32 vcc, 0, v12
	v_cndmask_b32_e64 v2, 0, 1, vcc
	v_lshl_or_b32 v2, v2, 9, v6
	v_cmp_eq_u32_e32 vcc, s11, v13
	v_cndmask_b32_e32 v0, v0, v2, vcc
	v_lshrrev_b32_e32 v2, 16, v5
	v_and_or_b32 v0, v2, s14, v0
	v_and_or_b32 v2, v4, s15, v3
	v_cmp_ne_u32_e32 vcc, 0, v2
	v_cndmask_b32_e64 v2, 0, 1, vcc
	v_lshrrev_b32_e32 v3, 8, v4
	v_and_or_b32 v5, v3, s10, v2
	v_bfe_u32 v3, v4, 20, 11
	v_sub_u32_e32 v12, 0x3f1, v3
	v_or_b32_e32 v2, 0x1000, v5
	v_med3_i32 v12, v12, 0, 13
	v_lshrrev_b32_e32 v13, v12, v2
	v_lshlrev_b32_e32 v12, v12, v13
	v_cmp_ne_u32_e32 vcc, v12, v2
	v_cndmask_b32_e64 v2, 0, 1, vcc
	v_add_u32_e32 v12, 0xfffffc10, v3
	v_or_b32_e32 v2, v13, v2
	v_lshl_or_b32 v3, v12, 12, v5
	v_cmp_gt_i32_e32 vcc, 1, v12
	v_cndmask_b32_e32 v2, v3, v2, vcc
	v_and_b32_e32 v3, 7, v2
	v_cmp_lt_i32_e32 vcc, 5, v3
	v_cmp_eq_u32_e64 s[2:3], 3, v3
	v_lshrrev_b32_e32 v2, 2, v2
	s_or_b64 vcc, s[2:3], vcc
	v_addc_co_u32_e32 v13, vcc, 0, v2, vcc
	v_add_u32_e32 v2, 0xa00, v95
	ds_read2_b32 v[2:3], v2 offset0:74 offset1:130
	v_cmp_gt_i32_e32 vcc, 31, v12
	v_cndmask_b32_e32 v13, v6, v13, vcc
	v_cmp_ne_u32_e32 vcc, 0, v5
	v_cndmask_b32_e64 v5, 0, 1, vcc
	s_waitcnt lgkmcnt(0)
	v_lshrrev_b32_e32 v14, 16, v2
	v_mul_f16_sdwa v15, v111, v14 dst_sel:DWORD dst_unused:UNUSED_PAD src0_sel:WORD_1 src1_sel:DWORD
	v_fma_f16 v15, v111, v2, v15
	v_cvt_f32_f16_e32 v15, v15
	v_lshl_or_b32 v5, v5, 9, v6
	v_cmp_eq_u32_e32 vcc, s11, v12
	v_cndmask_b32_e32 v5, v13, v5, vcc
	v_cvt_f64_f32_e32 v[12:13], v15
	v_lshrrev_b32_e32 v4, 16, v4
	v_and_or_b32 v15, v4, s14, v5
	v_and_b32_e32 v0, 0xffff, v0
	v_mul_f64 v[4:5], v[12:13], s[12:13]
	v_mov_b32_e32 v12, s4
	v_add_co_u32_e32 v10, vcc, s5, v10
	v_lshl_or_b32 v0, v15, 16, v0
	v_addc_co_u32_e32 v11, vcc, v11, v12, vcc
	global_store_dword v[10:11], v0, off
	v_and_or_b32 v0, v5, s15, v4
	v_cmp_ne_u32_e32 vcc, 0, v0
	v_cndmask_b32_e64 v0, 0, 1, vcc
	v_lshrrev_b32_e32 v4, 8, v5
	v_bfe_u32 v12, v5, 20, 11
	v_and_or_b32 v0, v4, s10, v0
	v_sub_u32_e32 v13, 0x3f1, v12
	v_or_b32_e32 v4, 0x1000, v0
	v_med3_i32 v13, v13, 0, 13
	v_lshrrev_b32_e32 v15, v13, v4
	v_lshlrev_b32_e32 v13, v13, v15
	v_cmp_ne_u32_e32 vcc, v13, v4
	v_mul_f16_sdwa v2, v111, v2 dst_sel:DWORD dst_unused:UNUSED_PAD src0_sel:WORD_1 src1_sel:DWORD
	v_cndmask_b32_e64 v4, 0, 1, vcc
	v_fma_f16 v2, v111, v14, -v2
	v_or_b32_e32 v4, v15, v4
	v_add_u32_e32 v15, 0xfffffc10, v12
	v_cvt_f32_f16_e32 v2, v2
	v_lshl_or_b32 v12, v15, 12, v0
	v_cmp_gt_i32_e32 vcc, 1, v15
	v_cndmask_b32_e32 v4, v12, v4, vcc
	v_and_b32_e32 v12, 7, v4
	v_cmp_lt_i32_e32 vcc, 5, v12
	v_cmp_eq_u32_e64 s[2:3], 3, v12
	v_cvt_f64_f32_e32 v[12:13], v2
	v_lshrrev_b32_e32 v4, 2, v4
	s_or_b64 vcc, s[2:3], vcc
	v_addc_co_u32_e32 v2, vcc, 0, v4, vcc
	v_mul_f64 v[12:13], v[12:13], s[12:13]
	v_cmp_gt_i32_e32 vcc, 31, v15
	v_cndmask_b32_e32 v2, v6, v2, vcc
	v_cmp_ne_u32_e32 vcc, 0, v0
	v_cndmask_b32_e64 v0, 0, 1, vcc
	v_lshl_or_b32 v0, v0, 9, v6
	v_cmp_eq_u32_e32 vcc, s11, v15
	v_cndmask_b32_e32 v0, v2, v0, vcc
	v_lshrrev_b32_e32 v2, 16, v5
	v_and_or_b32 v0, v2, s14, v0
	v_and_or_b32 v2, v13, s15, v12
	v_cmp_ne_u32_e32 vcc, 0, v2
	v_cndmask_b32_e64 v2, 0, 1, vcc
	v_lshrrev_b32_e32 v4, 8, v13
	v_bfe_u32 v5, v13, 20, 11
	v_and_or_b32 v2, v4, s10, v2
	v_sub_u32_e32 v12, 0x3f1, v5
	v_or_b32_e32 v4, 0x1000, v2
	v_med3_i32 v12, v12, 0, 13
	v_lshrrev_b32_e32 v14, v12, v4
	v_lshlrev_b32_e32 v12, v12, v14
	v_cmp_ne_u32_e32 vcc, v12, v4
	v_cndmask_b32_e64 v4, 0, 1, vcc
	v_add_u32_e32 v12, 0xfffffc10, v5
	v_or_b32_e32 v4, v14, v4
	v_lshl_or_b32 v5, v12, 12, v2
	v_cmp_gt_i32_e32 vcc, 1, v12
	v_cndmask_b32_e32 v4, v5, v4, vcc
	v_and_b32_e32 v5, 7, v4
	v_cmp_lt_i32_e32 vcc, 5, v5
	v_cmp_eq_u32_e64 s[2:3], 3, v5
	v_lshrrev_b32_e32 v14, 2, v4
	ds_read2_b32 v[4:5], v65 offset0:180 offset1:236
	s_or_b64 vcc, s[2:3], vcc
	v_addc_co_u32_e32 v14, vcc, 0, v14, vcc
	v_cmp_gt_i32_e32 vcc, 31, v12
	s_waitcnt lgkmcnt(0)
	v_lshrrev_b32_e32 v17, 16, v4
	v_cndmask_b32_e32 v16, v6, v14, vcc
	v_mul_f16_sdwa v14, v109, v17 dst_sel:DWORD dst_unused:UNUSED_PAD src0_sel:WORD_1 src1_sel:DWORD
	v_fma_f16 v14, v109, v4, v14
	v_cvt_f32_f16_e32 v14, v14
	v_cmp_ne_u32_e32 vcc, 0, v2
	v_cndmask_b32_e64 v2, 0, 1, vcc
	v_lshl_or_b32 v2, v2, 9, v6
	v_cvt_f64_f32_e32 v[14:15], v14
	v_cmp_eq_u32_e32 vcc, s11, v12
	v_cndmask_b32_e32 v2, v16, v2, vcc
	v_lshrrev_b32_e32 v12, 16, v13
	v_and_or_b32 v2, v12, s14, v2
	v_mul_f64 v[12:13], v[14:15], s[12:13]
	v_and_b32_e32 v0, 0xffff, v0
	v_add_co_u32_e32 v10, vcc, s6, v10
	v_lshl_or_b32 v0, v2, 16, v0
	v_addc_co_u32_e32 v11, vcc, v11, v9, vcc
	global_store_dword v[10:11], v0, off
	v_and_or_b32 v0, v13, s15, v12
	v_cmp_ne_u32_e32 vcc, 0, v0
	v_cndmask_b32_e64 v0, 0, 1, vcc
	v_lshrrev_b32_e32 v2, 8, v13
	v_bfe_u32 v12, v13, 20, 11
	v_and_or_b32 v0, v2, s10, v0
	v_sub_u32_e32 v14, 0x3f1, v12
	v_or_b32_e32 v2, 0x1000, v0
	v_med3_i32 v14, v14, 0, 13
	v_lshrrev_b32_e32 v15, v14, v2
	v_lshlrev_b32_e32 v14, v14, v15
	v_mul_f16_sdwa v4, v109, v4 dst_sel:DWORD dst_unused:UNUSED_PAD src0_sel:WORD_1 src1_sel:DWORD
	v_cmp_ne_u32_e32 vcc, v14, v2
	v_fma_f16 v4, v109, v17, -v4
	v_cndmask_b32_e64 v2, 0, 1, vcc
	v_add_u32_e32 v12, 0xfffffc10, v12
	v_cvt_f32_f16_e32 v4, v4
	v_or_b32_e32 v2, v15, v2
	v_lshl_or_b32 v14, v12, 12, v0
	v_cmp_gt_i32_e32 vcc, 1, v12
	v_cndmask_b32_e32 v2, v14, v2, vcc
	v_and_b32_e32 v14, 7, v2
	v_cmp_lt_i32_e32 vcc, 5, v14
	v_cmp_eq_u32_e64 s[2:3], 3, v14
	v_cvt_f64_f32_e32 v[14:15], v4
	v_lshrrev_b32_e32 v2, 2, v2
	s_or_b64 vcc, s[2:3], vcc
	v_addc_co_u32_e32 v2, vcc, 0, v2, vcc
	v_mul_f64 v[14:15], v[14:15], s[12:13]
	v_cmp_gt_i32_e32 vcc, 31, v12
	v_cndmask_b32_e32 v2, v6, v2, vcc
	v_cmp_ne_u32_e32 vcc, 0, v0
	v_cndmask_b32_e64 v0, 0, 1, vcc
	v_lshl_or_b32 v0, v0, 9, v6
	v_cmp_eq_u32_e32 vcc, s11, v12
	v_cndmask_b32_e32 v0, v2, v0, vcc
	v_lshrrev_b32_e32 v2, 16, v13
	v_and_or_b32 v0, v2, s14, v0
	v_and_or_b32 v2, v15, s15, v14
	v_cmp_ne_u32_e32 vcc, 0, v2
	v_cndmask_b32_e64 v2, 0, 1, vcc
	v_lshrrev_b32_e32 v4, 8, v15
	v_bfe_u32 v12, v15, 20, 11
	v_and_or_b32 v2, v4, s10, v2
	v_sub_u32_e32 v13, 0x3f1, v12
	v_or_b32_e32 v4, 0x1000, v2
	v_med3_i32 v13, v13, 0, 13
	v_lshrrev_b32_e32 v14, v13, v4
	v_lshlrev_b32_e32 v13, v13, v14
	v_cmp_ne_u32_e32 vcc, v13, v4
	v_cndmask_b32_e64 v4, 0, 1, vcc
	v_or_b32_e32 v4, v14, v4
	v_add_u32_e32 v14, 0xfffffc10, v12
	v_lshl_or_b32 v12, v14, 12, v2
	v_cmp_gt_i32_e32 vcc, 1, v14
	v_cndmask_b32_e32 v4, v12, v4, vcc
	v_and_b32_e32 v12, 7, v4
	v_cmp_lt_i32_e32 vcc, 5, v12
	v_cmp_eq_u32_e64 s[2:3], 3, v12
	ds_read2_b32 v[12:13], v64 offset0:158 offset1:214
	v_lshrrev_b32_e32 v4, 2, v4
	s_or_b64 vcc, s[2:3], vcc
	v_addc_co_u32_e32 v4, vcc, 0, v4, vcc
	s_waitcnt lgkmcnt(0)
	v_lshrrev_b32_e32 v18, 16, v12
	v_mul_f16_sdwa v16, v108, v18 dst_sel:DWORD dst_unused:UNUSED_PAD src0_sel:WORD_1 src1_sel:DWORD
	v_fma_f16 v16, v108, v12, v16
	v_cvt_f32_f16_e32 v16, v16
	v_cmp_gt_i32_e32 vcc, 31, v14
	v_cndmask_b32_e32 v4, v6, v4, vcc
	v_cmp_ne_u32_e32 vcc, 0, v2
	v_cvt_f64_f32_e32 v[16:17], v16
	v_cndmask_b32_e64 v2, 0, 1, vcc
	v_lshl_or_b32 v2, v2, 9, v6
	v_cmp_eq_u32_e32 vcc, s11, v14
	v_cndmask_b32_e32 v2, v4, v2, vcc
	v_lshrrev_b32_e32 v4, 16, v15
	v_mul_f64 v[14:15], v[16:17], s[12:13]
	v_and_or_b32 v2, v4, s14, v2
	v_and_b32_e32 v0, 0xffff, v0
	v_add_co_u32_e32 v10, vcc, s6, v10
	v_lshl_or_b32 v0, v2, 16, v0
	v_addc_co_u32_e32 v11, vcc, v11, v9, vcc
	global_store_dword v[10:11], v0, off
	v_and_or_b32 v0, v15, s15, v14
	v_cmp_ne_u32_e32 vcc, 0, v0
	v_cndmask_b32_e64 v0, 0, 1, vcc
	v_lshrrev_b32_e32 v2, 8, v15
	v_bfe_u32 v4, v15, 20, 11
	v_and_or_b32 v0, v2, s10, v0
	v_sub_u32_e32 v14, 0x3f1, v4
	v_mul_f16_sdwa v12, v108, v12 dst_sel:DWORD dst_unused:UNUSED_PAD src0_sel:WORD_1 src1_sel:DWORD
	v_or_b32_e32 v2, 0x1000, v0
	v_med3_i32 v14, v14, 0, 13
	v_fma_f16 v12, v108, v18, -v12
	v_lshrrev_b32_e32 v16, v14, v2
	v_cvt_f32_f16_e32 v12, v12
	v_lshlrev_b32_e32 v14, v14, v16
	v_cmp_ne_u32_e32 vcc, v14, v2
	v_cndmask_b32_e64 v2, 0, 1, vcc
	v_or_b32_e32 v2, v16, v2
	v_add_u32_e32 v4, 0xfffffc10, v4
	v_cvt_f64_f32_e32 v[16:17], v12
	v_lshl_or_b32 v14, v4, 12, v0
	v_cmp_gt_i32_e32 vcc, 1, v4
	v_cndmask_b32_e32 v2, v14, v2, vcc
	v_and_b32_e32 v14, 7, v2
	v_cmp_lt_i32_e32 vcc, 5, v14
	v_cmp_eq_u32_e64 s[2:3], 3, v14
	v_mul_f64 v[16:17], v[16:17], s[12:13]
	v_lshrrev_b32_e32 v2, 2, v2
	s_or_b64 vcc, s[2:3], vcc
	v_addc_co_u32_e32 v2, vcc, 0, v2, vcc
	v_cmp_gt_i32_e32 vcc, 31, v4
	v_cndmask_b32_e32 v2, v6, v2, vcc
	v_cmp_ne_u32_e32 vcc, 0, v0
	v_cndmask_b32_e64 v0, 0, 1, vcc
	v_lshl_or_b32 v0, v0, 9, v6
	v_cmp_eq_u32_e32 vcc, s11, v4
	v_cndmask_b32_e32 v0, v2, v0, vcc
	v_lshrrev_b32_e32 v2, 16, v15
	v_and_or_b32 v0, v2, s14, v0
	v_and_or_b32 v2, v17, s15, v16
	v_cmp_ne_u32_e32 vcc, 0, v2
	v_cndmask_b32_e64 v2, 0, 1, vcc
	v_lshrrev_b32_e32 v4, 8, v17
	v_bfe_u32 v12, v17, 20, 11
	v_and_or_b32 v2, v4, s10, v2
	v_sub_u32_e32 v14, 0x3f1, v12
	v_or_b32_e32 v4, 0x1000, v2
	v_med3_i32 v14, v14, 0, 13
	v_lshrrev_b32_e32 v15, v14, v4
	v_lshlrev_b32_e32 v14, v14, v15
	v_cmp_ne_u32_e32 vcc, v14, v4
	v_cndmask_b32_e64 v4, 0, 1, vcc
	v_add_u32_e32 v12, 0xfffffc10, v12
	v_or_b32_e32 v4, v15, v4
	v_lshl_or_b32 v14, v12, 12, v2
	v_cmp_gt_i32_e32 vcc, 1, v12
	v_cndmask_b32_e32 v4, v14, v4, vcc
	v_and_b32_e32 v14, 7, v4
	v_lshrrev_b32_e32 v16, 16, v1
	v_cmp_lt_i32_e32 vcc, 5, v14
	v_cmp_eq_u32_e64 s[2:3], 3, v14
	v_mul_f16_sdwa v14, v106, v16 dst_sel:DWORD dst_unused:UNUSED_PAD src0_sel:WORD_1 src1_sel:DWORD
	v_fma_f16 v14, v106, v1, v14
	v_cvt_f32_f16_e32 v14, v14
	v_lshrrev_b32_e32 v4, 2, v4
	s_or_b64 vcc, s[2:3], vcc
	v_addc_co_u32_e32 v4, vcc, 0, v4, vcc
	v_cvt_f64_f32_e32 v[14:15], v14
	v_cmp_gt_i32_e32 vcc, 31, v12
	v_cndmask_b32_e32 v4, v6, v4, vcc
	v_cmp_ne_u32_e32 vcc, 0, v2
	v_mul_f64 v[14:15], v[14:15], s[12:13]
	v_cndmask_b32_e64 v2, 0, 1, vcc
	v_lshl_or_b32 v2, v2, 9, v6
	v_cmp_eq_u32_e32 vcc, s11, v12
	v_cndmask_b32_e32 v2, v4, v2, vcc
	v_lshrrev_b32_e32 v4, 16, v17
	v_and_or_b32 v2, v4, s14, v2
	v_and_b32_e32 v0, 0xffff, v0
	v_add_co_u32_e32 v10, vcc, s6, v10
	v_lshl_or_b32 v0, v2, 16, v0
	v_addc_co_u32_e32 v11, vcc, v11, v9, vcc
	global_store_dword v[10:11], v0, off
	v_and_or_b32 v0, v15, s15, v14
	v_cmp_ne_u32_e32 vcc, 0, v0
	v_cndmask_b32_e64 v0, 0, 1, vcc
	v_lshrrev_b32_e32 v2, 8, v15
	v_bfe_u32 v4, v15, 20, 11
	v_and_or_b32 v2, v2, s10, v0
	v_sub_u32_e32 v12, 0x3f1, v4
	v_or_b32_e32 v0, 0x1000, v2
	v_med3_i32 v12, v12, 0, 13
	v_lshrrev_b32_e32 v14, v12, v0
	v_lshlrev_b32_e32 v12, v12, v14
	v_mul_f16_sdwa v1, v106, v1 dst_sel:DWORD dst_unused:UNUSED_PAD src0_sel:WORD_1 src1_sel:DWORD
	v_cmp_ne_u32_e32 vcc, v12, v0
	v_fma_f16 v1, v106, v16, -v1
	v_cndmask_b32_e64 v0, 0, 1, vcc
	v_add_u32_e32 v4, 0xfffffc10, v4
	v_cvt_f32_f16_e32 v1, v1
	v_or_b32_e32 v0, v14, v0
	v_lshl_or_b32 v12, v4, 12, v2
	v_cmp_gt_i32_e32 vcc, 1, v4
	v_cndmask_b32_e32 v0, v12, v0, vcc
	v_and_b32_e32 v12, 7, v0
	v_cmp_lt_i32_e32 vcc, 5, v12
	v_cmp_eq_u32_e64 s[2:3], 3, v12
	v_lshrrev_b32_e32 v12, 2, v0
	v_cvt_f64_f32_e32 v[0:1], v1
	s_or_b64 vcc, s[2:3], vcc
	v_addc_co_u32_e32 v12, vcc, 0, v12, vcc
	v_mul_f64 v[0:1], v[0:1], s[12:13]
	v_cmp_gt_i32_e32 vcc, 31, v4
	v_cndmask_b32_e32 v12, v6, v12, vcc
	v_cmp_ne_u32_e32 vcc, 0, v2
	v_cndmask_b32_e64 v2, 0, 1, vcc
	v_lshl_or_b32 v2, v2, 9, v6
	v_cmp_eq_u32_e32 vcc, s11, v4
	v_cndmask_b32_e32 v2, v12, v2, vcc
	v_and_or_b32 v0, v1, s15, v0
	v_lshrrev_b32_e32 v4, 16, v15
	v_cmp_ne_u32_e32 vcc, 0, v0
	v_and_or_b32 v2, v4, s14, v2
	v_cndmask_b32_e64 v0, 0, 1, vcc
	v_lshrrev_b32_e32 v4, 8, v1
	v_bfe_u32 v12, v1, 20, 11
	v_and_or_b32 v0, v4, s10, v0
	v_sub_u32_e32 v14, 0x3f1, v12
	v_or_b32_e32 v4, 0x1000, v0
	v_med3_i32 v14, v14, 0, 13
	v_lshrrev_b32_e32 v15, v14, v4
	v_lshlrev_b32_e32 v14, v14, v15
	v_cmp_ne_u32_e32 vcc, v14, v4
	v_cndmask_b32_e64 v4, 0, 1, vcc
	v_add_u32_e32 v12, 0xfffffc10, v12
	v_or_b32_e32 v4, v15, v4
	v_lshl_or_b32 v14, v12, 12, v0
	v_cmp_gt_i32_e32 vcc, 1, v12
	v_cndmask_b32_e32 v4, v14, v4, vcc
	v_and_b32_e32 v14, 7, v4
	v_lshrrev_b32_e32 v16, 16, v3
	v_cmp_lt_i32_e32 vcc, 5, v14
	v_cmp_eq_u32_e64 s[2:3], 3, v14
	v_mul_f16_sdwa v14, v107, v16 dst_sel:DWORD dst_unused:UNUSED_PAD src0_sel:WORD_1 src1_sel:DWORD
	v_fma_f16 v14, v107, v3, v14
	v_cvt_f32_f16_e32 v14, v14
	v_lshrrev_b32_e32 v4, 2, v4
	s_or_b64 vcc, s[2:3], vcc
	v_addc_co_u32_e32 v4, vcc, 0, v4, vcc
	v_cmp_gt_i32_e32 vcc, 31, v12
	v_cndmask_b32_e32 v4, v6, v4, vcc
	v_cmp_ne_u32_e32 vcc, 0, v0
	v_cvt_f64_f32_e32 v[14:15], v14
	v_cndmask_b32_e64 v0, 0, 1, vcc
	v_lshl_or_b32 v0, v0, 9, v6
	v_cmp_eq_u32_e32 vcc, s11, v12
	v_cndmask_b32_e32 v0, v4, v0, vcc
	v_lshrrev_b32_e32 v1, 16, v1
	v_and_or_b32 v4, v1, s14, v0
	v_mul_f64 v[0:1], v[14:15], s[12:13]
	v_and_b32_e32 v2, 0xffff, v2
	v_lshl_or_b32 v2, v4, 16, v2
	v_mov_b32_e32 v4, s4
	v_add_co_u32_e32 v10, vcc, s5, v10
	v_addc_co_u32_e32 v11, vcc, v11, v4, vcc
	v_and_or_b32 v0, v1, s15, v0
	v_cmp_ne_u32_e32 vcc, 0, v0
	global_store_dword v[10:11], v2, off
	v_cndmask_b32_e64 v0, 0, 1, vcc
	v_lshrrev_b32_e32 v2, 8, v1
	v_bfe_u32 v4, v1, 20, 11
	v_and_or_b32 v0, v2, s10, v0
	v_sub_u32_e32 v12, 0x3f1, v4
	v_or_b32_e32 v2, 0x1000, v0
	v_med3_i32 v12, v12, 0, 13
	v_lshrrev_b32_e32 v14, v12, v2
	v_lshlrev_b32_e32 v12, v12, v14
	v_mul_f16_sdwa v3, v107, v3 dst_sel:DWORD dst_unused:UNUSED_PAD src0_sel:WORD_1 src1_sel:DWORD
	v_cmp_ne_u32_e32 vcc, v12, v2
	v_fma_f16 v3, v107, v16, -v3
	v_cndmask_b32_e64 v2, 0, 1, vcc
	v_add_u32_e32 v4, 0xfffffc10, v4
	v_cvt_f32_f16_e32 v3, v3
	v_or_b32_e32 v2, v14, v2
	v_lshl_or_b32 v12, v4, 12, v0
	v_cmp_gt_i32_e32 vcc, 1, v4
	v_cndmask_b32_e32 v2, v12, v2, vcc
	v_and_b32_e32 v12, 7, v2
	v_cmp_lt_i32_e32 vcc, 5, v12
	v_cmp_eq_u32_e64 s[2:3], 3, v12
	v_lshrrev_b32_e32 v12, 2, v2
	v_cvt_f64_f32_e32 v[2:3], v3
	s_or_b64 vcc, s[2:3], vcc
	v_addc_co_u32_e32 v12, vcc, 0, v12, vcc
	v_mul_f64 v[2:3], v[2:3], s[12:13]
	v_cmp_gt_i32_e32 vcc, 31, v4
	v_cndmask_b32_e32 v12, v6, v12, vcc
	v_cmp_ne_u32_e32 vcc, 0, v0
	v_cndmask_b32_e64 v0, 0, 1, vcc
	v_lshl_or_b32 v0, v0, 9, v6
	v_cmp_eq_u32_e32 vcc, s11, v4
	v_cndmask_b32_e32 v0, v12, v0, vcc
	v_lshrrev_b32_e32 v1, 16, v1
	v_and_or_b32 v4, v1, s14, v0
	v_and_or_b32 v0, v3, s15, v2
	v_cmp_ne_u32_e32 vcc, 0, v0
	v_cndmask_b32_e64 v0, 0, 1, vcc
	v_lshrrev_b32_e32 v1, 8, v3
	v_bfe_u32 v2, v3, 20, 11
	v_and_or_b32 v0, v1, s10, v0
	v_sub_u32_e32 v12, 0x3f1, v2
	v_or_b32_e32 v1, 0x1000, v0
	v_med3_i32 v12, v12, 0, 13
	v_lshrrev_b32_e32 v14, v12, v1
	v_lshlrev_b32_e32 v12, v12, v14
	v_cmp_ne_u32_e32 vcc, v12, v1
	v_cndmask_b32_e64 v1, 0, 1, vcc
	v_add_u32_e32 v2, 0xfffffc10, v2
	v_or_b32_e32 v1, v14, v1
	v_lshl_or_b32 v12, v2, 12, v0
	v_cmp_gt_i32_e32 vcc, 1, v2
	v_cndmask_b32_e32 v1, v12, v1, vcc
	v_and_b32_e32 v12, 7, v1
	v_cmp_lt_i32_e32 vcc, 5, v12
	v_cmp_eq_u32_e64 s[2:3], 3, v12
	v_lshrrev_b32_e32 v1, 2, v1
	s_or_b64 vcc, s[2:3], vcc
	v_addc_co_u32_e32 v1, vcc, 0, v1, vcc
	v_cmp_gt_i32_e32 vcc, 31, v2
	v_lshrrev_b32_e32 v14, 16, v5
	v_cndmask_b32_e32 v12, v6, v1, vcc
	v_mul_f16_sdwa v1, v105, v14 dst_sel:DWORD dst_unused:UNUSED_PAD src0_sel:WORD_1 src1_sel:DWORD
	v_fma_f16 v1, v105, v5, v1
	v_cvt_f32_f16_e32 v1, v1
	v_cmp_ne_u32_e32 vcc, 0, v0
	v_cndmask_b32_e64 v0, 0, 1, vcc
	v_lshl_or_b32 v15, v0, 9, v6
	v_cvt_f64_f32_e32 v[0:1], v1
	v_cmp_eq_u32_e32 vcc, s11, v2
	v_cndmask_b32_e32 v2, v12, v15, vcc
	v_lshrrev_b32_e32 v3, 16, v3
	v_mul_f64 v[0:1], v[0:1], s[12:13]
	v_and_or_b32 v2, v3, s14, v2
	v_and_b32_e32 v3, 0xffff, v4
	v_lshl_or_b32 v4, v2, 16, v3
	v_add_co_u32_e32 v2, vcc, s6, v10
	v_addc_co_u32_e32 v3, vcc, v11, v9, vcc
	v_and_or_b32 v0, v1, s15, v0
	v_cmp_ne_u32_e32 vcc, 0, v0
	global_store_dword v[2:3], v4, off
	v_cndmask_b32_e64 v0, 0, 1, vcc
	v_lshrrev_b32_e32 v4, 8, v1
	v_bfe_u32 v10, v1, 20, 11
	v_and_or_b32 v0, v4, s10, v0
	v_sub_u32_e32 v11, 0x3f1, v10
	v_or_b32_e32 v4, 0x1000, v0
	v_med3_i32 v11, v11, 0, 13
	v_lshrrev_b32_e32 v12, v11, v4
	v_lshlrev_b32_e32 v11, v11, v12
	v_mul_f16_sdwa v5, v105, v5 dst_sel:DWORD dst_unused:UNUSED_PAD src0_sel:WORD_1 src1_sel:DWORD
	v_cmp_ne_u32_e32 vcc, v11, v4
	v_fma_f16 v5, v105, v14, -v5
	v_cndmask_b32_e64 v4, 0, 1, vcc
	v_add_u32_e32 v10, 0xfffffc10, v10
	v_cvt_f32_f16_e32 v5, v5
	v_or_b32_e32 v4, v12, v4
	v_lshl_or_b32 v11, v10, 12, v0
	v_cmp_gt_i32_e32 vcc, 1, v10
	v_cndmask_b32_e32 v4, v11, v4, vcc
	v_and_b32_e32 v11, 7, v4
	v_cmp_lt_i32_e32 vcc, 5, v11
	v_cmp_eq_u32_e64 s[2:3], 3, v11
	v_lshrrev_b32_e32 v11, 2, v4
	v_cvt_f64_f32_e32 v[4:5], v5
	s_or_b64 vcc, s[2:3], vcc
	v_addc_co_u32_e32 v11, vcc, 0, v11, vcc
	v_mul_f64 v[4:5], v[4:5], s[12:13]
	v_cmp_gt_i32_e32 vcc, 31, v10
	v_cndmask_b32_e32 v11, v6, v11, vcc
	v_cmp_ne_u32_e32 vcc, 0, v0
	v_cndmask_b32_e64 v0, 0, 1, vcc
	v_lshl_or_b32 v0, v0, 9, v6
	v_cmp_eq_u32_e32 vcc, s11, v10
	v_cndmask_b32_e32 v0, v11, v0, vcc
	v_lshrrev_b32_e32 v1, 16, v1
	v_and_or_b32 v10, v1, s14, v0
	v_and_or_b32 v0, v5, s15, v4
	v_cmp_ne_u32_e32 vcc, 0, v0
	v_cndmask_b32_e64 v0, 0, 1, vcc
	v_lshrrev_b32_e32 v1, 8, v5
	v_bfe_u32 v4, v5, 20, 11
	v_and_or_b32 v0, v1, s10, v0
	v_sub_u32_e32 v11, 0x3f1, v4
	v_or_b32_e32 v1, 0x1000, v0
	v_med3_i32 v11, v11, 0, 13
	v_lshrrev_b32_e32 v12, v11, v1
	v_lshlrev_b32_e32 v11, v11, v12
	v_cmp_ne_u32_e32 vcc, v11, v1
	v_cndmask_b32_e64 v1, 0, 1, vcc
	v_add_u32_e32 v4, 0xfffffc10, v4
	v_or_b32_e32 v1, v12, v1
	v_lshl_or_b32 v11, v4, 12, v0
	v_cmp_gt_i32_e32 vcc, 1, v4
	v_cndmask_b32_e32 v1, v11, v1, vcc
	v_and_b32_e32 v11, 7, v1
	v_cmp_lt_i32_e32 vcc, 5, v11
	v_cmp_eq_u32_e64 s[2:3], 3, v11
	v_lshrrev_b32_e32 v1, 2, v1
	s_or_b64 vcc, s[2:3], vcc
	v_addc_co_u32_e32 v1, vcc, 0, v1, vcc
	v_cmp_gt_i32_e32 vcc, 31, v4
	v_lshrrev_b32_e32 v12, 16, v13
	v_cndmask_b32_e32 v11, v6, v1, vcc
	v_mul_f16_sdwa v1, v104, v12 dst_sel:DWORD dst_unused:UNUSED_PAD src0_sel:WORD_1 src1_sel:DWORD
	v_fma_f16 v1, v104, v13, v1
	v_cvt_f32_f16_e32 v1, v1
	v_cmp_ne_u32_e32 vcc, 0, v0
	v_cndmask_b32_e64 v0, 0, 1, vcc
	v_lshl_or_b32 v14, v0, 9, v6
	v_cvt_f64_f32_e32 v[0:1], v1
	v_cmp_eq_u32_e32 vcc, s11, v4
	v_cndmask_b32_e32 v4, v11, v14, vcc
	v_lshrrev_b32_e32 v5, 16, v5
	v_mul_f64 v[0:1], v[0:1], s[12:13]
	v_add_co_u32_e32 v2, vcc, s6, v2
	v_and_or_b32 v4, v5, s14, v4
	v_and_b32_e32 v5, 0xffff, v10
	v_addc_co_u32_e32 v3, vcc, v3, v9, vcc
	v_lshl_or_b32 v4, v4, 16, v5
	v_and_or_b32 v0, v1, s15, v0
	v_cmp_ne_u32_e32 vcc, 0, v0
	global_store_dword v[2:3], v4, off
	v_cndmask_b32_e64 v0, 0, 1, vcc
	v_lshrrev_b32_e32 v4, 8, v1
	v_bfe_u32 v5, v1, 20, 11
	v_and_or_b32 v0, v4, s10, v0
	v_sub_u32_e32 v10, 0x3f1, v5
	v_or_b32_e32 v4, 0x1000, v0
	v_med3_i32 v10, v10, 0, 13
	v_lshrrev_b32_e32 v11, v10, v4
	v_lshlrev_b32_e32 v10, v10, v11
	v_cmp_ne_u32_e32 vcc, v10, v4
	v_cndmask_b32_e64 v4, 0, 1, vcc
	v_or_b32_e32 v4, v11, v4
	v_mul_f16_sdwa v11, v104, v13 dst_sel:DWORD dst_unused:UNUSED_PAD src0_sel:WORD_1 src1_sel:DWORD
	v_fma_f16 v11, v104, v12, -v11
	v_add_u32_e32 v10, 0xfffffc10, v5
	v_cvt_f32_f16_e32 v11, v11
	v_lshl_or_b32 v5, v10, 12, v0
	v_cmp_gt_i32_e32 vcc, 1, v10
	v_cndmask_b32_e32 v4, v5, v4, vcc
	v_and_b32_e32 v5, 7, v4
	v_cmp_lt_i32_e32 vcc, 5, v5
	v_cmp_eq_u32_e64 s[2:3], 3, v5
	v_lshrrev_b32_e32 v12, 2, v4
	v_cvt_f64_f32_e32 v[4:5], v11
	s_or_b64 vcc, s[2:3], vcc
	v_addc_co_u32_e32 v11, vcc, 0, v12, vcc
	v_mul_f64 v[4:5], v[4:5], s[12:13]
	v_cmp_gt_i32_e32 vcc, 31, v10
	v_cndmask_b32_e32 v11, v6, v11, vcc
	v_cmp_ne_u32_e32 vcc, 0, v0
	v_cndmask_b32_e64 v0, 0, 1, vcc
	v_lshl_or_b32 v0, v0, 9, v6
	v_cmp_eq_u32_e32 vcc, s11, v10
	v_cndmask_b32_e32 v0, v11, v0, vcc
	v_lshrrev_b32_e32 v1, 16, v1
	v_and_or_b32 v12, v1, s14, v0
	v_and_or_b32 v0, v5, s15, v4
	v_cmp_ne_u32_e32 vcc, 0, v0
	v_cndmask_b32_e64 v0, 0, 1, vcc
	v_lshrrev_b32_e32 v1, 8, v5
	v_and_or_b32 v4, v1, s10, v0
	v_bfe_u32 v1, v5, 20, 11
	v_sub_u32_e32 v10, 0x3f1, v1
	v_or_b32_e32 v0, 0x1000, v4
	v_med3_i32 v10, v10, 0, 13
	v_lshrrev_b32_e32 v11, v10, v0
	v_lshlrev_b32_e32 v10, v10, v11
	v_cmp_ne_u32_e32 vcc, v10, v0
	v_cndmask_b32_e64 v0, 0, 1, vcc
	v_add_u32_e32 v13, 0xfffffc10, v1
	v_or_b32_e32 v0, v11, v0
	v_lshl_or_b32 v1, v13, 12, v4
	v_cmp_gt_i32_e32 vcc, 1, v13
	v_cndmask_b32_e32 v0, v1, v0, vcc
	v_and_b32_e32 v1, 7, v0
	v_cmp_lt_i32_e32 vcc, 5, v1
	v_cmp_eq_u32_e64 s[2:3], 3, v1
	v_lshrrev_b32_e32 v10, 2, v0
	ds_read2_b32 v[0:1], v63 offset0:80 offset1:136
	s_or_b64 vcc, s[2:3], vcc
	v_addc_co_u32_e32 v10, vcc, 0, v10, vcc
	v_cmp_gt_i32_e32 vcc, 31, v13
	s_waitcnt lgkmcnt(0)
	v_lshrrev_b32_e32 v15, 16, v0
	v_cndmask_b32_e32 v14, v6, v10, vcc
	v_mul_f16_sdwa v10, v103, v15 dst_sel:DWORD dst_unused:UNUSED_PAD src0_sel:WORD_1 src1_sel:DWORD
	v_fma_f16 v10, v103, v0, v10
	v_cvt_f32_f16_e32 v10, v10
	v_cmp_ne_u32_e32 vcc, 0, v4
	v_cndmask_b32_e64 v4, 0, 1, vcc
	v_lshl_or_b32 v4, v4, 9, v6
	v_cvt_f64_f32_e32 v[10:11], v10
	v_cmp_eq_u32_e32 vcc, s11, v13
	v_cndmask_b32_e32 v4, v14, v4, vcc
	v_lshrrev_b32_e32 v5, 16, v5
	v_and_or_b32 v13, v5, s14, v4
	v_mul_f64 v[4:5], v[10:11], s[12:13]
	v_and_b32_e32 v10, 0xffff, v12
	v_lshl_or_b32 v12, v13, 16, v10
	v_add_co_u32_e32 v10, vcc, s6, v2
	v_addc_co_u32_e32 v11, vcc, v3, v9, vcc
	global_store_dword v[10:11], v12, off
	v_and_or_b32 v2, v5, s15, v4
	v_cmp_ne_u32_e32 vcc, 0, v2
	v_cndmask_b32_e64 v2, 0, 1, vcc
	v_lshrrev_b32_e32 v3, 8, v5
	v_and_or_b32 v12, v3, s10, v2
	v_bfe_u32 v3, v5, 20, 11
	v_sub_u32_e32 v4, 0x3f1, v3
	v_or_b32_e32 v2, 0x1000, v12
	v_med3_i32 v4, v4, 0, 13
	v_lshrrev_b32_e32 v13, v4, v2
	v_lshlrev_b32_e32 v4, v4, v13
	v_cmp_ne_u32_e32 vcc, v4, v2
	v_mul_f16_sdwa v0, v103, v0 dst_sel:DWORD dst_unused:UNUSED_PAD src0_sel:WORD_1 src1_sel:DWORD
	v_cndmask_b32_e64 v2, 0, 1, vcc
	v_fma_f16 v0, v103, v15, -v0
	v_or_b32_e32 v2, v13, v2
	v_add_u32_e32 v13, 0xfffffc10, v3
	v_cvt_f32_f16_e32 v0, v0
	v_lshl_or_b32 v3, v13, 12, v12
	v_cmp_gt_i32_e32 vcc, 1, v13
	v_cndmask_b32_e32 v2, v3, v2, vcc
	v_and_b32_e32 v3, 7, v2
	v_cmp_lt_i32_e32 vcc, 5, v3
	v_cmp_eq_u32_e64 s[2:3], 3, v3
	v_lshrrev_b32_e32 v4, 2, v2
	v_cvt_f64_f32_e32 v[2:3], v0
	s_or_b64 vcc, s[2:3], vcc
	v_addc_co_u32_e32 v0, vcc, 0, v4, vcc
	v_mul_f64 v[3:4], v[2:3], s[12:13]
	v_cmp_gt_i32_e32 vcc, 31, v13
	v_cndmask_b32_e32 v0, v6, v0, vcc
	v_cmp_ne_u32_e32 vcc, 0, v12
	v_cndmask_b32_e64 v2, 0, 1, vcc
	v_lshl_or_b32 v2, v2, 9, v6
	v_cmp_eq_u32_e32 vcc, s11, v13
	v_cndmask_b32_e32 v0, v0, v2, vcc
	v_lshrrev_b32_e32 v2, 16, v5
	v_and_or_b32 v0, v2, s14, v0
	v_and_or_b32 v2, v4, s15, v3
	v_cmp_ne_u32_e32 vcc, 0, v2
	v_cndmask_b32_e64 v2, 0, 1, vcc
	v_lshrrev_b32_e32 v3, 8, v4
	v_and_or_b32 v5, v3, s10, v2
	v_bfe_u32 v3, v4, 20, 11
	v_sub_u32_e32 v12, 0x3f1, v3
	v_or_b32_e32 v2, 0x1000, v5
	v_med3_i32 v12, v12, 0, 13
	v_lshrrev_b32_e32 v13, v12, v2
	v_lshlrev_b32_e32 v12, v12, v13
	v_cmp_ne_u32_e32 vcc, v12, v2
	v_cndmask_b32_e64 v2, 0, 1, vcc
	v_add_u32_e32 v12, 0xfffffc10, v3
	v_or_b32_e32 v2, v13, v2
	v_lshl_or_b32 v3, v12, 12, v5
	v_cmp_gt_i32_e32 vcc, 1, v12
	v_cndmask_b32_e32 v2, v3, v2, vcc
	v_and_b32_e32 v3, 7, v2
	v_cmp_lt_i32_e32 vcc, 5, v3
	v_cmp_eq_u32_e64 s[2:3], 3, v3
	v_lshrrev_b32_e32 v2, 2, v2
	s_or_b64 vcc, s[2:3], vcc
	v_addc_co_u32_e32 v13, vcc, 0, v2, vcc
	ds_read2_b32 v[2:3], v54 offset0:58 offset1:114
	v_cmp_gt_i32_e32 vcc, 31, v12
	v_cndmask_b32_e32 v13, v6, v13, vcc
	v_cmp_ne_u32_e32 vcc, 0, v5
	v_cndmask_b32_e64 v5, 0, 1, vcc
	s_waitcnt lgkmcnt(0)
	v_lshrrev_b32_e32 v14, 16, v2
	v_mul_f16_sdwa v15, v102, v14 dst_sel:DWORD dst_unused:UNUSED_PAD src0_sel:WORD_1 src1_sel:DWORD
	v_fma_f16 v15, v102, v2, v15
	v_cvt_f32_f16_e32 v15, v15
	v_lshl_or_b32 v5, v5, 9, v6
	v_cmp_eq_u32_e32 vcc, s11, v12
	v_cndmask_b32_e32 v5, v13, v5, vcc
	v_cvt_f64_f32_e32 v[12:13], v15
	v_lshrrev_b32_e32 v4, 16, v4
	v_and_or_b32 v15, v4, s14, v5
	v_and_b32_e32 v0, 0xffff, v0
	v_mul_f64 v[4:5], v[12:13], s[12:13]
	v_mov_b32_e32 v12, s4
	v_add_co_u32_e32 v10, vcc, s5, v10
	v_lshl_or_b32 v0, v15, 16, v0
	v_addc_co_u32_e32 v11, vcc, v11, v12, vcc
	global_store_dword v[10:11], v0, off
	v_and_or_b32 v0, v5, s15, v4
	v_cmp_ne_u32_e32 vcc, 0, v0
	v_cndmask_b32_e64 v0, 0, 1, vcc
	v_lshrrev_b32_e32 v4, 8, v5
	v_bfe_u32 v12, v5, 20, 11
	v_and_or_b32 v0, v4, s10, v0
	v_sub_u32_e32 v13, 0x3f1, v12
	v_or_b32_e32 v4, 0x1000, v0
	v_med3_i32 v13, v13, 0, 13
	v_lshrrev_b32_e32 v15, v13, v4
	v_lshlrev_b32_e32 v13, v13, v15
	v_cmp_ne_u32_e32 vcc, v13, v4
	v_mul_f16_sdwa v2, v102, v2 dst_sel:DWORD dst_unused:UNUSED_PAD src0_sel:WORD_1 src1_sel:DWORD
	v_cndmask_b32_e64 v4, 0, 1, vcc
	v_fma_f16 v2, v102, v14, -v2
	v_or_b32_e32 v4, v15, v4
	v_add_u32_e32 v15, 0xfffffc10, v12
	v_cvt_f32_f16_e32 v2, v2
	v_lshl_or_b32 v12, v15, 12, v0
	v_cmp_gt_i32_e32 vcc, 1, v15
	v_cndmask_b32_e32 v4, v12, v4, vcc
	v_and_b32_e32 v12, 7, v4
	v_cmp_lt_i32_e32 vcc, 5, v12
	v_cmp_eq_u32_e64 s[2:3], 3, v12
	v_cvt_f64_f32_e32 v[12:13], v2
	v_lshrrev_b32_e32 v4, 2, v4
	s_or_b64 vcc, s[2:3], vcc
	v_addc_co_u32_e32 v2, vcc, 0, v4, vcc
	v_mul_f64 v[12:13], v[12:13], s[12:13]
	v_cmp_gt_i32_e32 vcc, 31, v15
	v_cndmask_b32_e32 v2, v6, v2, vcc
	v_cmp_ne_u32_e32 vcc, 0, v0
	v_cndmask_b32_e64 v0, 0, 1, vcc
	v_lshl_or_b32 v0, v0, 9, v6
	v_cmp_eq_u32_e32 vcc, s11, v15
	v_cndmask_b32_e32 v0, v2, v0, vcc
	v_lshrrev_b32_e32 v2, 16, v5
	v_and_or_b32 v0, v2, s14, v0
	v_and_or_b32 v2, v13, s15, v12
	v_cmp_ne_u32_e32 vcc, 0, v2
	v_cndmask_b32_e64 v2, 0, 1, vcc
	v_lshrrev_b32_e32 v4, 8, v13
	v_bfe_u32 v5, v13, 20, 11
	v_and_or_b32 v2, v4, s10, v2
	v_sub_u32_e32 v12, 0x3f1, v5
	v_or_b32_e32 v4, 0x1000, v2
	v_med3_i32 v12, v12, 0, 13
	v_lshrrev_b32_e32 v14, v12, v4
	v_lshlrev_b32_e32 v12, v12, v14
	v_cmp_ne_u32_e32 vcc, v12, v4
	v_cndmask_b32_e64 v4, 0, 1, vcc
	v_add_u32_e32 v12, 0xfffffc10, v5
	v_or_b32_e32 v4, v14, v4
	v_lshl_or_b32 v5, v12, 12, v2
	v_cmp_gt_i32_e32 vcc, 1, v12
	v_cndmask_b32_e32 v4, v5, v4, vcc
	v_and_b32_e32 v5, 7, v4
	v_cmp_lt_i32_e32 vcc, 5, v5
	v_cmp_eq_u32_e64 s[2:3], 3, v5
	v_lshrrev_b32_e32 v14, 2, v4
	ds_read2_b32 v[4:5], v53 offset0:36 offset1:92
	s_or_b64 vcc, s[2:3], vcc
	v_addc_co_u32_e32 v14, vcc, 0, v14, vcc
	v_cmp_gt_i32_e32 vcc, 31, v12
	s_waitcnt lgkmcnt(0)
	v_lshrrev_b32_e32 v17, 16, v4
	v_cndmask_b32_e32 v16, v6, v14, vcc
	v_mul_f16_sdwa v14, v101, v17 dst_sel:DWORD dst_unused:UNUSED_PAD src0_sel:WORD_1 src1_sel:DWORD
	v_fma_f16 v14, v101, v4, v14
	v_cvt_f32_f16_e32 v14, v14
	v_cmp_ne_u32_e32 vcc, 0, v2
	v_cndmask_b32_e64 v2, 0, 1, vcc
	v_lshl_or_b32 v2, v2, 9, v6
	v_cvt_f64_f32_e32 v[14:15], v14
	v_cmp_eq_u32_e32 vcc, s11, v12
	v_cndmask_b32_e32 v2, v16, v2, vcc
	v_lshrrev_b32_e32 v12, 16, v13
	v_and_or_b32 v2, v12, s14, v2
	v_mul_f64 v[12:13], v[14:15], s[12:13]
	v_and_b32_e32 v0, 0xffff, v0
	v_add_co_u32_e32 v10, vcc, s6, v10
	v_lshl_or_b32 v0, v2, 16, v0
	v_addc_co_u32_e32 v11, vcc, v11, v9, vcc
	global_store_dword v[10:11], v0, off
	v_and_or_b32 v0, v13, s15, v12
	v_cmp_ne_u32_e32 vcc, 0, v0
	v_cndmask_b32_e64 v0, 0, 1, vcc
	v_lshrrev_b32_e32 v2, 8, v13
	v_bfe_u32 v12, v13, 20, 11
	v_and_or_b32 v0, v2, s10, v0
	v_sub_u32_e32 v14, 0x3f1, v12
	v_or_b32_e32 v2, 0x1000, v0
	v_med3_i32 v14, v14, 0, 13
	v_lshrrev_b32_e32 v15, v14, v2
	v_lshlrev_b32_e32 v14, v14, v15
	v_mul_f16_sdwa v4, v101, v4 dst_sel:DWORD dst_unused:UNUSED_PAD src0_sel:WORD_1 src1_sel:DWORD
	v_cmp_ne_u32_e32 vcc, v14, v2
	v_fma_f16 v4, v101, v17, -v4
	v_cndmask_b32_e64 v2, 0, 1, vcc
	v_add_u32_e32 v12, 0xfffffc10, v12
	v_cvt_f32_f16_e32 v4, v4
	v_or_b32_e32 v2, v15, v2
	v_lshl_or_b32 v14, v12, 12, v0
	v_cmp_gt_i32_e32 vcc, 1, v12
	v_cndmask_b32_e32 v2, v14, v2, vcc
	v_and_b32_e32 v14, 7, v2
	v_cmp_lt_i32_e32 vcc, 5, v14
	v_cmp_eq_u32_e64 s[2:3], 3, v14
	v_cvt_f64_f32_e32 v[14:15], v4
	v_lshrrev_b32_e32 v2, 2, v2
	s_or_b64 vcc, s[2:3], vcc
	v_addc_co_u32_e32 v2, vcc, 0, v2, vcc
	v_mul_f64 v[14:15], v[14:15], s[12:13]
	v_cmp_gt_i32_e32 vcc, 31, v12
	v_cndmask_b32_e32 v2, v6, v2, vcc
	v_cmp_ne_u32_e32 vcc, 0, v0
	v_cndmask_b32_e64 v0, 0, 1, vcc
	v_lshl_or_b32 v0, v0, 9, v6
	v_cmp_eq_u32_e32 vcc, s11, v12
	v_cndmask_b32_e32 v0, v2, v0, vcc
	v_lshrrev_b32_e32 v2, 16, v13
	v_and_or_b32 v0, v2, s14, v0
	v_and_or_b32 v2, v15, s15, v14
	v_cmp_ne_u32_e32 vcc, 0, v2
	v_cndmask_b32_e64 v2, 0, 1, vcc
	v_lshrrev_b32_e32 v4, 8, v15
	v_bfe_u32 v12, v15, 20, 11
	v_and_or_b32 v2, v4, s10, v2
	v_sub_u32_e32 v13, 0x3f1, v12
	v_or_b32_e32 v4, 0x1000, v2
	v_med3_i32 v13, v13, 0, 13
	v_lshrrev_b32_e32 v14, v13, v4
	v_lshlrev_b32_e32 v13, v13, v14
	v_cmp_ne_u32_e32 vcc, v13, v4
	v_cndmask_b32_e64 v4, 0, 1, vcc
	v_or_b32_e32 v4, v14, v4
	v_add_u32_e32 v14, 0xfffffc10, v12
	v_lshl_or_b32 v12, v14, 12, v2
	v_cmp_gt_i32_e32 vcc, 1, v14
	v_cndmask_b32_e32 v4, v12, v4, vcc
	v_and_b32_e32 v12, 7, v4
	v_cmp_lt_i32_e32 vcc, 5, v12
	v_cmp_eq_u32_e64 s[2:3], 3, v12
	ds_read2_b32 v[12:13], v49 offset0:14 offset1:70
	v_lshrrev_b32_e32 v4, 2, v4
	s_or_b64 vcc, s[2:3], vcc
	v_addc_co_u32_e32 v4, vcc, 0, v4, vcc
	s_waitcnt lgkmcnt(0)
	v_lshrrev_b32_e32 v18, 16, v12
	v_mul_f16_sdwa v16, v100, v18 dst_sel:DWORD dst_unused:UNUSED_PAD src0_sel:WORD_1 src1_sel:DWORD
	v_fma_f16 v16, v100, v12, v16
	v_cvt_f32_f16_e32 v16, v16
	v_cmp_gt_i32_e32 vcc, 31, v14
	v_cndmask_b32_e32 v4, v6, v4, vcc
	v_cmp_ne_u32_e32 vcc, 0, v2
	v_cvt_f64_f32_e32 v[16:17], v16
	v_cndmask_b32_e64 v2, 0, 1, vcc
	v_lshl_or_b32 v2, v2, 9, v6
	v_cmp_eq_u32_e32 vcc, s11, v14
	v_cndmask_b32_e32 v2, v4, v2, vcc
	v_lshrrev_b32_e32 v4, 16, v15
	v_mul_f64 v[14:15], v[16:17], s[12:13]
	v_and_or_b32 v2, v4, s14, v2
	v_and_b32_e32 v0, 0xffff, v0
	v_add_co_u32_e32 v10, vcc, s6, v10
	v_lshl_or_b32 v0, v2, 16, v0
	v_addc_co_u32_e32 v11, vcc, v11, v9, vcc
	global_store_dword v[10:11], v0, off
	v_and_or_b32 v0, v15, s15, v14
	v_cmp_ne_u32_e32 vcc, 0, v0
	v_cndmask_b32_e64 v0, 0, 1, vcc
	v_lshrrev_b32_e32 v2, 8, v15
	v_bfe_u32 v4, v15, 20, 11
	v_and_or_b32 v0, v2, s10, v0
	v_sub_u32_e32 v14, 0x3f1, v4
	v_mul_f16_sdwa v12, v100, v12 dst_sel:DWORD dst_unused:UNUSED_PAD src0_sel:WORD_1 src1_sel:DWORD
	v_or_b32_e32 v2, 0x1000, v0
	v_med3_i32 v14, v14, 0, 13
	v_fma_f16 v12, v100, v18, -v12
	v_lshrrev_b32_e32 v16, v14, v2
	v_cvt_f32_f16_e32 v12, v12
	v_lshlrev_b32_e32 v14, v14, v16
	v_cmp_ne_u32_e32 vcc, v14, v2
	v_cndmask_b32_e64 v2, 0, 1, vcc
	v_or_b32_e32 v2, v16, v2
	v_add_u32_e32 v4, 0xfffffc10, v4
	v_cvt_f64_f32_e32 v[16:17], v12
	v_lshl_or_b32 v14, v4, 12, v0
	v_cmp_gt_i32_e32 vcc, 1, v4
	v_cndmask_b32_e32 v2, v14, v2, vcc
	v_and_b32_e32 v14, 7, v2
	v_cmp_lt_i32_e32 vcc, 5, v14
	v_cmp_eq_u32_e64 s[2:3], 3, v14
	v_mul_f64 v[16:17], v[16:17], s[12:13]
	v_lshrrev_b32_e32 v2, 2, v2
	s_or_b64 vcc, s[2:3], vcc
	v_addc_co_u32_e32 v2, vcc, 0, v2, vcc
	v_cmp_gt_i32_e32 vcc, 31, v4
	v_cndmask_b32_e32 v2, v6, v2, vcc
	v_cmp_ne_u32_e32 vcc, 0, v0
	v_cndmask_b32_e64 v0, 0, 1, vcc
	v_lshl_or_b32 v0, v0, 9, v6
	v_cmp_eq_u32_e32 vcc, s11, v4
	v_cndmask_b32_e32 v0, v2, v0, vcc
	v_lshrrev_b32_e32 v2, 16, v15
	v_and_or_b32 v0, v2, s14, v0
	v_and_or_b32 v2, v17, s15, v16
	v_cmp_ne_u32_e32 vcc, 0, v2
	v_cndmask_b32_e64 v2, 0, 1, vcc
	v_lshrrev_b32_e32 v4, 8, v17
	v_bfe_u32 v12, v17, 20, 11
	v_and_or_b32 v2, v4, s10, v2
	v_sub_u32_e32 v14, 0x3f1, v12
	v_or_b32_e32 v4, 0x1000, v2
	v_med3_i32 v14, v14, 0, 13
	v_lshrrev_b32_e32 v15, v14, v4
	v_lshlrev_b32_e32 v14, v14, v15
	v_cmp_ne_u32_e32 vcc, v14, v4
	v_cndmask_b32_e64 v4, 0, 1, vcc
	v_add_u32_e32 v12, 0xfffffc10, v12
	v_or_b32_e32 v4, v15, v4
	v_lshl_or_b32 v14, v12, 12, v2
	v_cmp_gt_i32_e32 vcc, 1, v12
	v_cndmask_b32_e32 v4, v14, v4, vcc
	v_and_b32_e32 v14, 7, v4
	v_lshrrev_b32_e32 v16, 16, v1
	v_cmp_lt_i32_e32 vcc, 5, v14
	v_cmp_eq_u32_e64 s[2:3], 3, v14
	v_mul_f16_sdwa v14, v99, v16 dst_sel:DWORD dst_unused:UNUSED_PAD src0_sel:WORD_1 src1_sel:DWORD
	v_fma_f16 v14, v99, v1, v14
	v_cvt_f32_f16_e32 v14, v14
	v_lshrrev_b32_e32 v4, 2, v4
	s_or_b64 vcc, s[2:3], vcc
	v_addc_co_u32_e32 v4, vcc, 0, v4, vcc
	v_cvt_f64_f32_e32 v[14:15], v14
	v_cmp_gt_i32_e32 vcc, 31, v12
	v_cndmask_b32_e32 v4, v6, v4, vcc
	v_cmp_ne_u32_e32 vcc, 0, v2
	v_mul_f64 v[14:15], v[14:15], s[12:13]
	v_cndmask_b32_e64 v2, 0, 1, vcc
	v_lshl_or_b32 v2, v2, 9, v6
	v_cmp_eq_u32_e32 vcc, s11, v12
	v_cndmask_b32_e32 v2, v4, v2, vcc
	v_lshrrev_b32_e32 v4, 16, v17
	v_and_or_b32 v2, v4, s14, v2
	v_and_b32_e32 v0, 0xffff, v0
	v_add_co_u32_e32 v10, vcc, s6, v10
	v_lshl_or_b32 v0, v2, 16, v0
	v_addc_co_u32_e32 v11, vcc, v11, v9, vcc
	global_store_dword v[10:11], v0, off
	v_and_or_b32 v0, v15, s15, v14
	v_cmp_ne_u32_e32 vcc, 0, v0
	v_cndmask_b32_e64 v0, 0, 1, vcc
	v_lshrrev_b32_e32 v2, 8, v15
	v_bfe_u32 v4, v15, 20, 11
	v_and_or_b32 v2, v2, s10, v0
	v_sub_u32_e32 v12, 0x3f1, v4
	v_or_b32_e32 v0, 0x1000, v2
	v_med3_i32 v12, v12, 0, 13
	v_lshrrev_b32_e32 v14, v12, v0
	v_lshlrev_b32_e32 v12, v12, v14
	v_mul_f16_sdwa v1, v99, v1 dst_sel:DWORD dst_unused:UNUSED_PAD src0_sel:WORD_1 src1_sel:DWORD
	v_cmp_ne_u32_e32 vcc, v12, v0
	v_fma_f16 v1, v99, v16, -v1
	v_cndmask_b32_e64 v0, 0, 1, vcc
	v_add_u32_e32 v4, 0xfffffc10, v4
	v_cvt_f32_f16_e32 v1, v1
	v_or_b32_e32 v0, v14, v0
	v_lshl_or_b32 v12, v4, 12, v2
	v_cmp_gt_i32_e32 vcc, 1, v4
	v_cndmask_b32_e32 v0, v12, v0, vcc
	v_and_b32_e32 v12, 7, v0
	v_cmp_lt_i32_e32 vcc, 5, v12
	v_cmp_eq_u32_e64 s[2:3], 3, v12
	v_lshrrev_b32_e32 v12, 2, v0
	v_cvt_f64_f32_e32 v[0:1], v1
	s_or_b64 vcc, s[2:3], vcc
	v_addc_co_u32_e32 v12, vcc, 0, v12, vcc
	v_mul_f64 v[0:1], v[0:1], s[12:13]
	v_cmp_gt_i32_e32 vcc, 31, v4
	v_cndmask_b32_e32 v12, v6, v12, vcc
	v_cmp_ne_u32_e32 vcc, 0, v2
	v_cndmask_b32_e64 v2, 0, 1, vcc
	v_lshl_or_b32 v2, v2, 9, v6
	v_cmp_eq_u32_e32 vcc, s11, v4
	v_cndmask_b32_e32 v2, v12, v2, vcc
	v_and_or_b32 v0, v1, s15, v0
	v_lshrrev_b32_e32 v4, 16, v15
	v_cmp_ne_u32_e32 vcc, 0, v0
	v_and_or_b32 v2, v4, s14, v2
	v_cndmask_b32_e64 v0, 0, 1, vcc
	v_lshrrev_b32_e32 v4, 8, v1
	v_bfe_u32 v12, v1, 20, 11
	v_and_or_b32 v0, v4, s10, v0
	v_sub_u32_e32 v14, 0x3f1, v12
	v_or_b32_e32 v4, 0x1000, v0
	v_med3_i32 v14, v14, 0, 13
	v_lshrrev_b32_e32 v15, v14, v4
	v_lshlrev_b32_e32 v14, v14, v15
	v_cmp_ne_u32_e32 vcc, v14, v4
	v_cndmask_b32_e64 v4, 0, 1, vcc
	v_add_u32_e32 v12, 0xfffffc10, v12
	v_or_b32_e32 v4, v15, v4
	v_lshl_or_b32 v14, v12, 12, v0
	v_cmp_gt_i32_e32 vcc, 1, v12
	v_cndmask_b32_e32 v4, v14, v4, vcc
	v_and_b32_e32 v14, 7, v4
	v_lshrrev_b32_e32 v16, 16, v3
	v_cmp_lt_i32_e32 vcc, 5, v14
	v_cmp_eq_u32_e64 s[2:3], 3, v14
	v_mul_f16_sdwa v14, v98, v16 dst_sel:DWORD dst_unused:UNUSED_PAD src0_sel:WORD_1 src1_sel:DWORD
	v_fma_f16 v14, v98, v3, v14
	v_cvt_f32_f16_e32 v14, v14
	v_lshrrev_b32_e32 v4, 2, v4
	s_or_b64 vcc, s[2:3], vcc
	v_addc_co_u32_e32 v4, vcc, 0, v4, vcc
	v_cmp_gt_i32_e32 vcc, 31, v12
	v_cndmask_b32_e32 v4, v6, v4, vcc
	v_cmp_ne_u32_e32 vcc, 0, v0
	v_cvt_f64_f32_e32 v[14:15], v14
	v_cndmask_b32_e64 v0, 0, 1, vcc
	v_lshl_or_b32 v0, v0, 9, v6
	v_cmp_eq_u32_e32 vcc, s11, v12
	v_cndmask_b32_e32 v0, v4, v0, vcc
	v_lshrrev_b32_e32 v1, 16, v1
	v_and_or_b32 v4, v1, s14, v0
	v_mul_f64 v[0:1], v[14:15], s[12:13]
	v_and_b32_e32 v2, 0xffff, v2
	v_lshl_or_b32 v2, v4, 16, v2
	v_mov_b32_e32 v4, s4
	v_add_co_u32_e32 v10, vcc, s5, v10
	v_addc_co_u32_e32 v11, vcc, v11, v4, vcc
	v_and_or_b32 v0, v1, s15, v0
	v_cmp_ne_u32_e32 vcc, 0, v0
	global_store_dword v[10:11], v2, off
	v_cndmask_b32_e64 v0, 0, 1, vcc
	v_lshrrev_b32_e32 v2, 8, v1
	v_bfe_u32 v4, v1, 20, 11
	v_and_or_b32 v0, v2, s10, v0
	v_sub_u32_e32 v12, 0x3f1, v4
	v_or_b32_e32 v2, 0x1000, v0
	v_med3_i32 v12, v12, 0, 13
	v_lshrrev_b32_e32 v14, v12, v2
	v_lshlrev_b32_e32 v12, v12, v14
	v_mul_f16_sdwa v3, v98, v3 dst_sel:DWORD dst_unused:UNUSED_PAD src0_sel:WORD_1 src1_sel:DWORD
	v_cmp_ne_u32_e32 vcc, v12, v2
	v_fma_f16 v3, v98, v16, -v3
	v_cndmask_b32_e64 v2, 0, 1, vcc
	v_add_u32_e32 v4, 0xfffffc10, v4
	v_cvt_f32_f16_e32 v3, v3
	v_or_b32_e32 v2, v14, v2
	v_lshl_or_b32 v12, v4, 12, v0
	v_cmp_gt_i32_e32 vcc, 1, v4
	v_cndmask_b32_e32 v2, v12, v2, vcc
	v_and_b32_e32 v12, 7, v2
	v_cmp_lt_i32_e32 vcc, 5, v12
	v_cmp_eq_u32_e64 s[2:3], 3, v12
	v_lshrrev_b32_e32 v12, 2, v2
	v_cvt_f64_f32_e32 v[2:3], v3
	s_or_b64 vcc, s[2:3], vcc
	v_addc_co_u32_e32 v12, vcc, 0, v12, vcc
	v_mul_f64 v[2:3], v[2:3], s[12:13]
	v_cmp_gt_i32_e32 vcc, 31, v4
	v_cndmask_b32_e32 v12, v6, v12, vcc
	v_cmp_ne_u32_e32 vcc, 0, v0
	v_cndmask_b32_e64 v0, 0, 1, vcc
	v_lshl_or_b32 v0, v0, 9, v6
	v_cmp_eq_u32_e32 vcc, s11, v4
	v_cndmask_b32_e32 v0, v12, v0, vcc
	v_lshrrev_b32_e32 v1, 16, v1
	v_and_or_b32 v4, v1, s14, v0
	v_and_or_b32 v0, v3, s15, v2
	v_cmp_ne_u32_e32 vcc, 0, v0
	v_cndmask_b32_e64 v0, 0, 1, vcc
	v_lshrrev_b32_e32 v1, 8, v3
	v_bfe_u32 v2, v3, 20, 11
	v_and_or_b32 v0, v1, s10, v0
	v_sub_u32_e32 v12, 0x3f1, v2
	v_or_b32_e32 v1, 0x1000, v0
	v_med3_i32 v12, v12, 0, 13
	v_lshrrev_b32_e32 v14, v12, v1
	v_lshlrev_b32_e32 v12, v12, v14
	v_cmp_ne_u32_e32 vcc, v12, v1
	v_cndmask_b32_e64 v1, 0, 1, vcc
	v_add_u32_e32 v2, 0xfffffc10, v2
	v_or_b32_e32 v1, v14, v1
	v_lshl_or_b32 v12, v2, 12, v0
	v_cmp_gt_i32_e32 vcc, 1, v2
	v_cndmask_b32_e32 v1, v12, v1, vcc
	v_and_b32_e32 v12, 7, v1
	v_cmp_lt_i32_e32 vcc, 5, v12
	v_cmp_eq_u32_e64 s[2:3], 3, v12
	v_lshrrev_b32_e32 v1, 2, v1
	s_or_b64 vcc, s[2:3], vcc
	v_addc_co_u32_e32 v1, vcc, 0, v1, vcc
	v_cmp_gt_i32_e32 vcc, 31, v2
	v_lshrrev_b32_e32 v14, 16, v5
	v_cndmask_b32_e32 v12, v6, v1, vcc
	v_mul_f16_sdwa v1, v97, v14 dst_sel:DWORD dst_unused:UNUSED_PAD src0_sel:WORD_1 src1_sel:DWORD
	v_fma_f16 v1, v97, v5, v1
	v_cvt_f32_f16_e32 v1, v1
	v_cmp_ne_u32_e32 vcc, 0, v0
	v_cndmask_b32_e64 v0, 0, 1, vcc
	v_lshl_or_b32 v15, v0, 9, v6
	v_cvt_f64_f32_e32 v[0:1], v1
	v_cmp_eq_u32_e32 vcc, s11, v2
	v_cndmask_b32_e32 v2, v12, v15, vcc
	v_lshrrev_b32_e32 v3, 16, v3
	v_mul_f64 v[0:1], v[0:1], s[12:13]
	v_and_or_b32 v2, v3, s14, v2
	v_and_b32_e32 v3, 0xffff, v4
	v_lshl_or_b32 v4, v2, 16, v3
	v_add_co_u32_e32 v2, vcc, s6, v10
	v_addc_co_u32_e32 v3, vcc, v11, v9, vcc
	v_and_or_b32 v0, v1, s15, v0
	v_cmp_ne_u32_e32 vcc, 0, v0
	global_store_dword v[2:3], v4, off
	v_cndmask_b32_e64 v0, 0, 1, vcc
	v_lshrrev_b32_e32 v4, 8, v1
	v_bfe_u32 v10, v1, 20, 11
	v_and_or_b32 v0, v4, s10, v0
	v_sub_u32_e32 v11, 0x3f1, v10
	v_or_b32_e32 v4, 0x1000, v0
	v_med3_i32 v11, v11, 0, 13
	v_lshrrev_b32_e32 v12, v11, v4
	v_lshlrev_b32_e32 v11, v11, v12
	v_mul_f16_sdwa v5, v97, v5 dst_sel:DWORD dst_unused:UNUSED_PAD src0_sel:WORD_1 src1_sel:DWORD
	v_cmp_ne_u32_e32 vcc, v11, v4
	v_fma_f16 v5, v97, v14, -v5
	v_cndmask_b32_e64 v4, 0, 1, vcc
	v_add_u32_e32 v10, 0xfffffc10, v10
	v_cvt_f32_f16_e32 v5, v5
	v_or_b32_e32 v4, v12, v4
	v_lshl_or_b32 v11, v10, 12, v0
	v_cmp_gt_i32_e32 vcc, 1, v10
	v_cndmask_b32_e32 v4, v11, v4, vcc
	v_and_b32_e32 v11, 7, v4
	v_cmp_lt_i32_e32 vcc, 5, v11
	v_cmp_eq_u32_e64 s[2:3], 3, v11
	v_lshrrev_b32_e32 v11, 2, v4
	v_cvt_f64_f32_e32 v[4:5], v5
	s_or_b64 vcc, s[2:3], vcc
	v_addc_co_u32_e32 v11, vcc, 0, v11, vcc
	v_mul_f64 v[4:5], v[4:5], s[12:13]
	v_cmp_gt_i32_e32 vcc, 31, v10
	v_cndmask_b32_e32 v11, v6, v11, vcc
	v_cmp_ne_u32_e32 vcc, 0, v0
	v_cndmask_b32_e64 v0, 0, 1, vcc
	v_lshl_or_b32 v0, v0, 9, v6
	v_cmp_eq_u32_e32 vcc, s11, v10
	v_cndmask_b32_e32 v0, v11, v0, vcc
	v_lshrrev_b32_e32 v1, 16, v1
	v_and_or_b32 v10, v1, s14, v0
	v_and_or_b32 v0, v5, s15, v4
	v_cmp_ne_u32_e32 vcc, 0, v0
	v_cndmask_b32_e64 v0, 0, 1, vcc
	v_lshrrev_b32_e32 v1, 8, v5
	v_bfe_u32 v4, v5, 20, 11
	v_and_or_b32 v0, v1, s10, v0
	v_sub_u32_e32 v11, 0x3f1, v4
	v_or_b32_e32 v1, 0x1000, v0
	v_med3_i32 v11, v11, 0, 13
	v_lshrrev_b32_e32 v12, v11, v1
	v_lshlrev_b32_e32 v11, v11, v12
	v_cmp_ne_u32_e32 vcc, v11, v1
	v_cndmask_b32_e64 v1, 0, 1, vcc
	v_add_u32_e32 v4, 0xfffffc10, v4
	v_or_b32_e32 v1, v12, v1
	v_lshl_or_b32 v11, v4, 12, v0
	v_cmp_gt_i32_e32 vcc, 1, v4
	v_cndmask_b32_e32 v1, v11, v1, vcc
	v_and_b32_e32 v11, 7, v1
	v_cmp_lt_i32_e32 vcc, 5, v11
	v_cmp_eq_u32_e64 s[2:3], 3, v11
	v_lshrrev_b32_e32 v1, 2, v1
	s_or_b64 vcc, s[2:3], vcc
	v_addc_co_u32_e32 v1, vcc, 0, v1, vcc
	v_cmp_gt_i32_e32 vcc, 31, v4
	v_lshrrev_b32_e32 v12, 16, v13
	v_cndmask_b32_e32 v11, v6, v1, vcc
	v_mul_f16_sdwa v1, v96, v12 dst_sel:DWORD dst_unused:UNUSED_PAD src0_sel:WORD_1 src1_sel:DWORD
	v_fma_f16 v1, v96, v13, v1
	v_cvt_f32_f16_e32 v1, v1
	v_cmp_ne_u32_e32 vcc, 0, v0
	v_cndmask_b32_e64 v0, 0, 1, vcc
	v_lshl_or_b32 v14, v0, 9, v6
	v_cvt_f64_f32_e32 v[0:1], v1
	v_cmp_eq_u32_e32 vcc, s11, v4
	v_cndmask_b32_e32 v4, v11, v14, vcc
	v_lshrrev_b32_e32 v5, 16, v5
	v_mul_f64 v[0:1], v[0:1], s[12:13]
	v_add_co_u32_e32 v2, vcc, s6, v2
	v_and_or_b32 v4, v5, s14, v4
	v_and_b32_e32 v5, 0xffff, v10
	v_addc_co_u32_e32 v3, vcc, v3, v9, vcc
	v_lshl_or_b32 v4, v4, 16, v5
	v_and_or_b32 v0, v1, s15, v0
	v_cmp_ne_u32_e32 vcc, 0, v0
	global_store_dword v[2:3], v4, off
	v_cndmask_b32_e64 v0, 0, 1, vcc
	v_lshrrev_b32_e32 v4, 8, v1
	v_bfe_u32 v5, v1, 20, 11
	v_and_or_b32 v0, v4, s10, v0
	v_sub_u32_e32 v10, 0x3f1, v5
	v_or_b32_e32 v4, 0x1000, v0
	v_med3_i32 v10, v10, 0, 13
	v_lshrrev_b32_e32 v11, v10, v4
	v_lshlrev_b32_e32 v10, v10, v11
	v_cmp_ne_u32_e32 vcc, v10, v4
	v_cndmask_b32_e64 v4, 0, 1, vcc
	v_or_b32_e32 v4, v11, v4
	v_mul_f16_sdwa v11, v96, v13 dst_sel:DWORD dst_unused:UNUSED_PAD src0_sel:WORD_1 src1_sel:DWORD
	v_fma_f16 v11, v96, v12, -v11
	v_add_u32_e32 v10, 0xfffffc10, v5
	v_cvt_f32_f16_e32 v11, v11
	v_lshl_or_b32 v5, v10, 12, v0
	v_cmp_gt_i32_e32 vcc, 1, v10
	v_cndmask_b32_e32 v4, v5, v4, vcc
	v_and_b32_e32 v5, 7, v4
	v_cmp_lt_i32_e32 vcc, 5, v5
	v_cmp_eq_u32_e64 s[2:3], 3, v5
	v_lshrrev_b32_e32 v12, 2, v4
	v_cvt_f64_f32_e32 v[4:5], v11
	s_or_b64 vcc, s[2:3], vcc
	v_addc_co_u32_e32 v11, vcc, 0, v12, vcc
	v_mul_f64 v[4:5], v[4:5], s[12:13]
	v_cmp_gt_i32_e32 vcc, 31, v10
	v_cndmask_b32_e32 v11, v6, v11, vcc
	v_cmp_ne_u32_e32 vcc, 0, v0
	v_cndmask_b32_e64 v0, 0, 1, vcc
	v_lshl_or_b32 v0, v0, 9, v6
	v_cmp_eq_u32_e32 vcc, s11, v10
	v_cndmask_b32_e32 v0, v11, v0, vcc
	v_lshrrev_b32_e32 v1, 16, v1
	v_and_or_b32 v0, v1, s14, v0
	v_and_or_b32 v1, v5, s15, v4
	v_cmp_ne_u32_e32 vcc, 0, v1
	v_cndmask_b32_e64 v1, 0, 1, vcc
	v_lshrrev_b32_e32 v4, 8, v5
	v_bfe_u32 v10, v5, 20, 11
	v_and_or_b32 v1, v4, s10, v1
	v_sub_u32_e32 v11, 0x3f1, v10
	v_or_b32_e32 v4, 0x1000, v1
	v_med3_i32 v11, v11, 0, 13
	v_lshrrev_b32_e32 v12, v11, v4
	v_lshlrev_b32_e32 v11, v11, v12
	v_cmp_ne_u32_e32 vcc, v11, v4
	v_cndmask_b32_e64 v4, 0, 1, vcc
	v_add_u32_e32 v10, 0xfffffc10, v10
	v_or_b32_e32 v4, v12, v4
	v_lshl_or_b32 v11, v10, 12, v1
	v_cmp_gt_i32_e32 vcc, 1, v10
	v_cndmask_b32_e32 v4, v11, v4, vcc
	v_and_b32_e32 v11, 7, v4
	v_cmp_lt_i32_e32 vcc, 5, v11
	v_cmp_eq_u32_e64 s[2:3], 3, v11
	v_lshrrev_b32_e32 v4, 2, v4
	s_or_b64 vcc, s[2:3], vcc
	v_addc_co_u32_e32 v4, vcc, 0, v4, vcc
	v_cmp_gt_i32_e32 vcc, 31, v10
	v_cndmask_b32_e32 v4, v6, v4, vcc
	v_cmp_ne_u32_e32 vcc, 0, v1
	v_cndmask_b32_e64 v1, 0, 1, vcc
	v_lshl_or_b32 v1, v1, 9, v6
	v_cmp_eq_u32_e32 vcc, s11, v10
	v_cndmask_b32_e32 v1, v4, v1, vcc
	v_lshrrev_b32_e32 v4, 16, v5
	v_and_or_b32 v1, v4, s14, v1
	v_and_b32_e32 v0, 0xffff, v0
	v_lshl_or_b32 v4, v1, 16, v0
	v_add_co_u32_e32 v0, vcc, s6, v2
	v_addc_co_u32_e32 v1, vcc, v3, v9, vcc
	global_store_dword v[0:1], v4, off
	s_and_b64 exec, exec, s[0:1]
	s_cbranch_execz .LBB0_25
; %bb.24:
	global_load_dword v4, v[50:51], off offset:1792
	ds_read_b32 v5, v95 offset:1792
	ds_read_b32 v12, v95 offset:3752
	ds_read_b32 v13, v95 offset:5712
	ds_read_b32 v14, v95 offset:7672
	v_mad_u64_u32 v[2:3], s[0:1], s8, v48, 0
	s_waitcnt lgkmcnt(3)
	v_lshrrev_b32_e32 v9, 16, v5
	s_waitcnt vmcnt(0)
	v_mul_f16_sdwa v10, v9, v4 dst_sel:DWORD dst_unused:UNUSED_PAD src0_sel:DWORD src1_sel:WORD_1
	v_fma_f16 v10, v5, v4, v10
	v_cvt_f32_f16_e32 v10, v10
	v_mul_f16_sdwa v5, v5, v4 dst_sel:DWORD dst_unused:UNUSED_PAD src0_sel:DWORD src1_sel:WORD_1
	v_fma_f16 v4, v4, v9, -v5
	v_cvt_f32_f16_e32 v11, v4
	v_cvt_f64_f32_e32 v[4:5], v10
	v_mad_u64_u32 v[9:10], s[0:1], s9, v48, v[3:4]
	v_cvt_f64_f32_e32 v[10:11], v11
	v_mul_f64 v[4:5], v[4:5], s[12:13]
	v_mov_b32_e32 v3, v9
	v_lshlrev_b64 v[2:3], 2, v[2:3]
	v_mul_f64 v[9:10], v[10:11], s[12:13]
	v_add_co_u32_e32 v2, vcc, v7, v2
	v_addc_co_u32_e32 v3, vcc, v8, v3, vcc
	v_and_or_b32 v4, v5, s15, v4
	v_cmp_ne_u32_e32 vcc, 0, v4
	v_lshrrev_b32_e32 v7, 8, v5
	v_and_or_b32 v9, v10, s15, v9
	v_bfe_u32 v8, v5, 20, 11
	v_cndmask_b32_e64 v4, 0, 1, vcc
	v_cmp_ne_u32_e32 vcc, 0, v9
	v_lshrrev_b32_e32 v11, 8, v10
	v_bfe_u32 v15, v10, 20, 11
	v_sub_u32_e32 v16, 0x3f1, v8
	v_cndmask_b32_e64 v9, 0, 1, vcc
	v_and_or_b32 v4, v7, s10, v4
	v_sub_u32_e32 v17, 0x3f1, v15
	v_med3_i32 v7, v16, 0, 13
	v_and_or_b32 v9, v11, s10, v9
	v_or_b32_e32 v16, 0x1000, v4
	v_add_u32_e32 v8, 0xfffffc10, v8
	v_med3_i32 v11, v17, 0, 13
	v_cmp_ne_u32_e32 vcc, 0, v4
	v_or_b32_e32 v18, 0x1000, v9
	v_lshrrev_b32_e32 v20, v7, v16
	v_add_u32_e32 v15, 0xfffffc10, v15
	v_lshl_or_b32 v17, v8, 12, v4
	v_cndmask_b32_e64 v4, 0, 1, vcc
	v_cmp_ne_u32_e32 vcc, 0, v9
	v_lshrrev_b32_e32 v21, v11, v18
	v_lshlrev_b32_e32 v7, v7, v20
	v_lshl_or_b32 v19, v15, 12, v9
	v_cndmask_b32_e64 v9, 0, 1, vcc
	v_lshlrev_b32_e32 v11, v11, v21
	v_cmp_ne_u32_e32 vcc, v7, v16
	v_cndmask_b32_e64 v7, 0, 1, vcc
	v_cmp_ne_u32_e32 vcc, v11, v18
	v_cndmask_b32_e64 v11, 0, 1, vcc
	v_or_b32_e32 v7, v20, v7
	v_cmp_gt_i32_e32 vcc, 1, v8
	v_cndmask_b32_e32 v7, v17, v7, vcc
	v_or_b32_e32 v11, v21, v11
	v_cmp_gt_i32_e32 vcc, 1, v15
	v_and_b32_e32 v16, 7, v7
	v_cndmask_b32_e32 v11, v19, v11, vcc
	v_cmp_lt_i32_e32 vcc, 5, v16
	v_cmp_eq_u32_e64 s[0:1], 3, v16
	v_lshrrev_b32_e32 v7, 2, v7
	v_and_b32_e32 v17, 7, v11
	s_or_b64 vcc, s[0:1], vcc
	v_cmp_lt_i32_e64 s[2:3], 5, v17
	v_cmp_eq_u32_e64 s[4:5], 3, v17
	v_addc_co_u32_e32 v7, vcc, 0, v7, vcc
	v_lshrrev_b32_e32 v11, 2, v11
	s_or_b64 vcc, s[4:5], s[2:3]
	v_addc_co_u32_e32 v11, vcc, 0, v11, vcc
	v_cmp_gt_i32_e32 vcc, 31, v8
	v_cndmask_b32_e32 v7, v6, v7, vcc
	v_cmp_gt_i32_e32 vcc, 31, v15
	v_lshl_or_b32 v4, v4, 9, v6
	v_cndmask_b32_e32 v11, v6, v11, vcc
	v_cmp_eq_u32_e32 vcc, s11, v8
	v_lshrrev_b32_e32 v5, 16, v5
	v_lshl_or_b32 v9, v9, 9, v6
	v_cndmask_b32_e32 v4, v7, v4, vcc
	v_cmp_eq_u32_e32 vcc, s11, v15
	v_lshrrev_b32_e32 v10, 16, v10
	v_cndmask_b32_e32 v7, v11, v9, vcc
	v_and_or_b32 v4, v5, s14, v4
	v_and_or_b32 v5, v10, s14, v7
	v_and_b32_e32 v4, 0xffff, v4
	v_lshl_or_b32 v4, v5, 16, v4
	global_store_dword v[2:3], v4, off
	global_load_dword v2, v[50:51], off offset:3752
	s_waitcnt lgkmcnt(2)
	v_lshrrev_b32_e32 v3, 16, v12
	v_mov_b32_e32 v7, 0xfffff190
	v_mad_u64_u32 v[0:1], s[0:1], s8, v7, v[0:1]
	v_add_co_u32_e32 v7, vcc, s16, v50
	v_addc_co_u32_e32 v8, vcc, 0, v51, vcc
	s_mul_i32 s2, s9, 0xfffff190
	s_sub_i32 s0, s2, s8
	v_add_u32_e32 v1, s0, v1
	s_waitcnt vmcnt(0)
	v_mul_f16_sdwa v4, v3, v2 dst_sel:DWORD dst_unused:UNUSED_PAD src0_sel:DWORD src1_sel:WORD_1
	v_mul_f16_sdwa v5, v12, v2 dst_sel:DWORD dst_unused:UNUSED_PAD src0_sel:DWORD src1_sel:WORD_1
	v_fma_f16 v4, v12, v2, v4
	v_fma_f16 v2, v2, v3, -v5
	v_cvt_f32_f16_e32 v3, v4
	v_cvt_f32_f16_e32 v4, v2
	v_cvt_f64_f32_e32 v[2:3], v3
	v_cvt_f64_f32_e32 v[4:5], v4
	v_mul_f64 v[2:3], v[2:3], s[12:13]
	v_mul_f64 v[4:5], v[4:5], s[12:13]
	v_and_or_b32 v2, v3, s15, v2
	v_and_or_b32 v4, v5, s15, v4
	v_cmp_ne_u32_e32 vcc, 0, v2
	v_lshrrev_b32_e32 v9, 8, v3
	v_bfe_u32 v10, v3, 20, 11
	v_cndmask_b32_e64 v2, 0, 1, vcc
	v_cmp_ne_u32_e32 vcc, 0, v4
	v_lshrrev_b32_e32 v11, 8, v5
	v_bfe_u32 v12, v5, 20, 11
	v_sub_u32_e32 v15, 0x3f1, v10
	v_cndmask_b32_e64 v4, 0, 1, vcc
	v_and_or_b32 v2, v9, s10, v2
	v_sub_u32_e32 v16, 0x3f1, v12
	v_med3_i32 v9, v15, 0, 13
	v_and_or_b32 v4, v11, s10, v4
	v_or_b32_e32 v15, 0x1000, v2
	v_add_u32_e32 v10, 0xfffffc10, v10
	v_med3_i32 v11, v16, 0, 13
	v_cmp_ne_u32_e32 vcc, 0, v2
	v_or_b32_e32 v17, 0x1000, v4
	v_lshrrev_b32_e32 v19, v9, v15
	v_add_u32_e32 v12, 0xfffffc10, v12
	v_lshl_or_b32 v16, v10, 12, v2
	v_cndmask_b32_e64 v2, 0, 1, vcc
	v_cmp_ne_u32_e32 vcc, 0, v4
	v_lshrrev_b32_e32 v20, v11, v17
	v_lshlrev_b32_e32 v9, v9, v19
	v_lshl_or_b32 v18, v12, 12, v4
	v_cndmask_b32_e64 v4, 0, 1, vcc
	v_lshlrev_b32_e32 v11, v11, v20
	v_cmp_ne_u32_e32 vcc, v9, v15
	v_cndmask_b32_e64 v9, 0, 1, vcc
	v_cmp_ne_u32_e32 vcc, v11, v17
	v_cndmask_b32_e64 v11, 0, 1, vcc
	v_or_b32_e32 v9, v19, v9
	v_cmp_gt_i32_e32 vcc, 1, v10
	v_cndmask_b32_e32 v9, v16, v9, vcc
	v_or_b32_e32 v11, v20, v11
	v_cmp_gt_i32_e32 vcc, 1, v12
	v_and_b32_e32 v15, 7, v9
	v_cndmask_b32_e32 v11, v18, v11, vcc
	v_cmp_lt_i32_e32 vcc, 5, v15
	v_cmp_eq_u32_e64 s[0:1], 3, v15
	v_lshrrev_b32_e32 v9, 2, v9
	v_and_b32_e32 v16, 7, v11
	s_or_b64 vcc, s[0:1], vcc
	v_cmp_lt_i32_e64 s[2:3], 5, v16
	v_cmp_eq_u32_e64 s[4:5], 3, v16
	v_addc_co_u32_e32 v9, vcc, 0, v9, vcc
	v_lshrrev_b32_e32 v11, 2, v11
	s_or_b64 vcc, s[4:5], s[2:3]
	v_addc_co_u32_e32 v11, vcc, 0, v11, vcc
	v_cmp_gt_i32_e32 vcc, 31, v10
	v_cndmask_b32_e32 v9, v6, v9, vcc
	v_cmp_gt_i32_e32 vcc, 31, v12
	v_lshl_or_b32 v2, v2, 9, v6
	v_cndmask_b32_e32 v11, v6, v11, vcc
	v_cmp_eq_u32_e32 vcc, s11, v10
	v_lshrrev_b32_e32 v3, 16, v3
	v_lshl_or_b32 v4, v4, 9, v6
	v_cndmask_b32_e32 v2, v9, v2, vcc
	v_cmp_eq_u32_e32 vcc, s11, v12
	v_lshrrev_b32_e32 v5, 16, v5
	v_cndmask_b32_e32 v4, v11, v4, vcc
	v_and_or_b32 v2, v3, s14, v2
	v_and_or_b32 v3, v5, s14, v4
	v_and_b32_e32 v2, 0xffff, v2
	v_lshl_or_b32 v2, v3, 16, v2
	global_store_dword v[0:1], v2, off
	global_load_dword v2, v[7:8], off offset:1616
	s_waitcnt lgkmcnt(1)
	v_lshrrev_b32_e32 v3, 16, v13
	v_mov_b32_e32 v9, s7
	v_add_co_u32_e32 v0, vcc, s6, v0
	v_addc_co_u32_e32 v1, vcc, v1, v9, vcc
	s_waitcnt vmcnt(0)
	v_mul_f16_sdwa v4, v3, v2 dst_sel:DWORD dst_unused:UNUSED_PAD src0_sel:DWORD src1_sel:WORD_1
	v_fma_f16 v4, v13, v2, v4
	v_mul_f16_sdwa v5, v13, v2 dst_sel:DWORD dst_unused:UNUSED_PAD src0_sel:DWORD src1_sel:WORD_1
	v_cvt_f32_f16_e32 v4, v4
	v_fma_f16 v2, v2, v3, -v5
	v_cvt_f32_f16_e32 v5, v2
	v_cvt_f64_f32_e32 v[2:3], v4
	v_cvt_f64_f32_e32 v[4:5], v5
	v_mul_f64 v[2:3], v[2:3], s[12:13]
	v_mul_f64 v[4:5], v[4:5], s[12:13]
	v_and_or_b32 v2, v3, s15, v2
	v_cmp_ne_u32_e32 vcc, 0, v2
	v_and_or_b32 v4, v5, s15, v4
	v_lshrrev_b32_e32 v10, 8, v3
	v_bfe_u32 v11, v3, 20, 11
	v_cndmask_b32_e64 v2, 0, 1, vcc
	v_cmp_ne_u32_e32 vcc, 0, v4
	v_lshrrev_b32_e32 v12, 8, v5
	v_bfe_u32 v13, v5, 20, 11
	v_sub_u32_e32 v15, 0x3f1, v11
	v_cndmask_b32_e64 v4, 0, 1, vcc
	v_and_or_b32 v2, v10, s10, v2
	v_sub_u32_e32 v16, 0x3f1, v13
	v_med3_i32 v10, v15, 0, 13
	v_and_or_b32 v4, v12, s10, v4
	v_or_b32_e32 v15, 0x1000, v2
	v_add_u32_e32 v11, 0xfffffc10, v11
	v_med3_i32 v12, v16, 0, 13
	v_cmp_ne_u32_e32 vcc, 0, v2
	v_or_b32_e32 v17, 0x1000, v4
	v_lshrrev_b32_e32 v19, v10, v15
	v_add_u32_e32 v13, 0xfffffc10, v13
	v_lshl_or_b32 v16, v11, 12, v2
	v_cndmask_b32_e64 v2, 0, 1, vcc
	v_cmp_ne_u32_e32 vcc, 0, v4
	v_lshrrev_b32_e32 v20, v12, v17
	v_lshlrev_b32_e32 v10, v10, v19
	v_lshl_or_b32 v18, v13, 12, v4
	v_cndmask_b32_e64 v4, 0, 1, vcc
	v_lshlrev_b32_e32 v12, v12, v20
	v_cmp_ne_u32_e32 vcc, v10, v15
	v_cndmask_b32_e64 v10, 0, 1, vcc
	v_cmp_ne_u32_e32 vcc, v12, v17
	v_cndmask_b32_e64 v12, 0, 1, vcc
	v_or_b32_e32 v10, v19, v10
	v_cmp_gt_i32_e32 vcc, 1, v11
	v_cndmask_b32_e32 v10, v16, v10, vcc
	v_or_b32_e32 v12, v20, v12
	v_cmp_gt_i32_e32 vcc, 1, v13
	v_and_b32_e32 v15, 7, v10
	v_cndmask_b32_e32 v12, v18, v12, vcc
	v_cmp_lt_i32_e32 vcc, 5, v15
	v_cmp_eq_u32_e64 s[0:1], 3, v15
	v_lshrrev_b32_e32 v10, 2, v10
	v_and_b32_e32 v16, 7, v12
	s_or_b64 vcc, s[0:1], vcc
	v_cmp_lt_i32_e64 s[2:3], 5, v16
	v_cmp_eq_u32_e64 s[4:5], 3, v16
	v_addc_co_u32_e32 v10, vcc, 0, v10, vcc
	v_lshrrev_b32_e32 v12, 2, v12
	s_or_b64 vcc, s[4:5], s[2:3]
	v_addc_co_u32_e32 v12, vcc, 0, v12, vcc
	v_cmp_gt_i32_e32 vcc, 31, v11
	v_cndmask_b32_e32 v10, v6, v10, vcc
	v_cmp_gt_i32_e32 vcc, 31, v13
	v_lshl_or_b32 v2, v2, 9, v6
	v_cndmask_b32_e32 v12, v6, v12, vcc
	v_cmp_eq_u32_e32 vcc, s11, v11
	v_lshrrev_b32_e32 v3, 16, v3
	v_lshl_or_b32 v4, v4, 9, v6
	v_cndmask_b32_e32 v2, v10, v2, vcc
	v_cmp_eq_u32_e32 vcc, s11, v13
	v_lshrrev_b32_e32 v5, 16, v5
	v_cndmask_b32_e32 v4, v12, v4, vcc
	v_and_or_b32 v2, v3, s14, v2
	v_and_or_b32 v3, v5, s14, v4
	v_and_b32_e32 v2, 0xffff, v2
	v_lshl_or_b32 v2, v3, 16, v2
	global_store_dword v[0:1], v2, off
	global_load_dword v2, v[7:8], off offset:3576
	s_waitcnt lgkmcnt(0)
	v_lshrrev_b32_e32 v3, 16, v14
	s_waitcnt vmcnt(0)
	v_mul_f16_sdwa v4, v3, v2 dst_sel:DWORD dst_unused:UNUSED_PAD src0_sel:DWORD src1_sel:WORD_1
	v_fma_f16 v4, v14, v2, v4
	v_mul_f16_sdwa v5, v14, v2 dst_sel:DWORD dst_unused:UNUSED_PAD src0_sel:DWORD src1_sel:WORD_1
	v_cvt_f32_f16_e32 v4, v4
	v_fma_f16 v2, v2, v3, -v5
	v_cvt_f32_f16_e32 v5, v2
	v_cvt_f64_f32_e32 v[2:3], v4
	v_cvt_f64_f32_e32 v[4:5], v5
	v_mul_f64 v[2:3], v[2:3], s[12:13]
	v_mul_f64 v[4:5], v[4:5], s[12:13]
	v_and_or_b32 v2, v3, s15, v2
	v_cmp_ne_u32_e32 vcc, 0, v2
	v_and_or_b32 v4, v5, s15, v4
	v_lshrrev_b32_e32 v7, 8, v3
	v_bfe_u32 v8, v3, 20, 11
	v_cndmask_b32_e64 v2, 0, 1, vcc
	v_cmp_ne_u32_e32 vcc, 0, v4
	v_lshrrev_b32_e32 v10, 8, v5
	v_bfe_u32 v11, v5, 20, 11
	v_sub_u32_e32 v12, 0x3f1, v8
	v_cndmask_b32_e64 v4, 0, 1, vcc
	v_and_or_b32 v2, v7, s10, v2
	v_sub_u32_e32 v13, 0x3f1, v11
	v_med3_i32 v7, v12, 0, 13
	v_and_or_b32 v4, v10, s10, v4
	v_or_b32_e32 v12, 0x1000, v2
	v_add_u32_e32 v8, 0xfffffc10, v8
	v_med3_i32 v10, v13, 0, 13
	v_cmp_ne_u32_e32 vcc, 0, v2
	v_or_b32_e32 v14, 0x1000, v4
	v_lshrrev_b32_e32 v16, v7, v12
	v_add_u32_e32 v11, 0xfffffc10, v11
	v_lshl_or_b32 v13, v8, 12, v2
	v_cndmask_b32_e64 v2, 0, 1, vcc
	v_cmp_ne_u32_e32 vcc, 0, v4
	v_lshrrev_b32_e32 v17, v10, v14
	v_lshlrev_b32_e32 v7, v7, v16
	v_lshl_or_b32 v15, v11, 12, v4
	v_cndmask_b32_e64 v4, 0, 1, vcc
	v_lshlrev_b32_e32 v10, v10, v17
	v_cmp_ne_u32_e32 vcc, v7, v12
	v_cndmask_b32_e64 v7, 0, 1, vcc
	v_cmp_ne_u32_e32 vcc, v10, v14
	v_cndmask_b32_e64 v10, 0, 1, vcc
	v_or_b32_e32 v7, v16, v7
	v_cmp_gt_i32_e32 vcc, 1, v8
	v_cndmask_b32_e32 v7, v13, v7, vcc
	v_or_b32_e32 v10, v17, v10
	v_cmp_gt_i32_e32 vcc, 1, v11
	v_and_b32_e32 v12, 7, v7
	v_cndmask_b32_e32 v10, v15, v10, vcc
	v_cmp_lt_i32_e32 vcc, 5, v12
	v_cmp_eq_u32_e64 s[0:1], 3, v12
	v_lshrrev_b32_e32 v7, 2, v7
	v_and_b32_e32 v13, 7, v10
	s_or_b64 vcc, s[0:1], vcc
	v_cmp_lt_i32_e64 s[2:3], 5, v13
	v_cmp_eq_u32_e64 s[4:5], 3, v13
	v_addc_co_u32_e32 v7, vcc, 0, v7, vcc
	v_lshrrev_b32_e32 v10, 2, v10
	s_or_b64 vcc, s[4:5], s[2:3]
	v_addc_co_u32_e32 v10, vcc, 0, v10, vcc
	v_cmp_gt_i32_e32 vcc, 31, v8
	v_cndmask_b32_e32 v7, v6, v7, vcc
	v_cmp_gt_i32_e32 vcc, 31, v11
	v_lshl_or_b32 v2, v2, 9, v6
	v_lshl_or_b32 v4, v4, 9, v6
	v_cndmask_b32_e32 v6, v6, v10, vcc
	v_cmp_eq_u32_e32 vcc, s11, v8
	v_lshrrev_b32_e32 v3, 16, v3
	v_cndmask_b32_e32 v2, v7, v2, vcc
	v_cmp_eq_u32_e32 vcc, s11, v11
	v_lshrrev_b32_e32 v5, 16, v5
	v_cndmask_b32_e32 v4, v6, v4, vcc
	v_and_or_b32 v2, v3, s14, v2
	v_and_or_b32 v3, v5, s14, v4
	v_and_b32_e32 v2, 0xffff, v2
	v_add_co_u32_e32 v0, vcc, s6, v0
	v_lshl_or_b32 v2, v3, 16, v2
	v_addc_co_u32_e32 v1, vcc, v1, v9, vcc
	global_store_dword v[0:1], v2, off
.LBB0_25:
	s_endpgm
	.section	.rodata,"a",@progbits
	.p2align	6, 0x0
	.amdhsa_kernel bluestein_single_back_len1960_dim1_half_op_CI_CI
		.amdhsa_group_segment_fixed_size 7840
		.amdhsa_private_segment_fixed_size 0
		.amdhsa_kernarg_size 104
		.amdhsa_user_sgpr_count 6
		.amdhsa_user_sgpr_private_segment_buffer 1
		.amdhsa_user_sgpr_dispatch_ptr 0
		.amdhsa_user_sgpr_queue_ptr 0
		.amdhsa_user_sgpr_kernarg_segment_ptr 1
		.amdhsa_user_sgpr_dispatch_id 0
		.amdhsa_user_sgpr_flat_scratch_init 0
		.amdhsa_user_sgpr_private_segment_size 0
		.amdhsa_uses_dynamic_stack 0
		.amdhsa_system_sgpr_private_segment_wavefront_offset 0
		.amdhsa_system_sgpr_workgroup_id_x 1
		.amdhsa_system_sgpr_workgroup_id_y 0
		.amdhsa_system_sgpr_workgroup_id_z 0
		.amdhsa_system_sgpr_workgroup_info 0
		.amdhsa_system_vgpr_workitem_id 0
		.amdhsa_next_free_vgpr 244
		.amdhsa_next_free_sgpr 22
		.amdhsa_reserve_vcc 1
		.amdhsa_reserve_flat_scratch 0
		.amdhsa_float_round_mode_32 0
		.amdhsa_float_round_mode_16_64 0
		.amdhsa_float_denorm_mode_32 3
		.amdhsa_float_denorm_mode_16_64 3
		.amdhsa_dx10_clamp 1
		.amdhsa_ieee_mode 1
		.amdhsa_fp16_overflow 0
		.amdhsa_exception_fp_ieee_invalid_op 0
		.amdhsa_exception_fp_denorm_src 0
		.amdhsa_exception_fp_ieee_div_zero 0
		.amdhsa_exception_fp_ieee_overflow 0
		.amdhsa_exception_fp_ieee_underflow 0
		.amdhsa_exception_fp_ieee_inexact 0
		.amdhsa_exception_int_div_zero 0
	.end_amdhsa_kernel
	.text
.Lfunc_end0:
	.size	bluestein_single_back_len1960_dim1_half_op_CI_CI, .Lfunc_end0-bluestein_single_back_len1960_dim1_half_op_CI_CI
                                        ; -- End function
	.section	.AMDGPU.csdata,"",@progbits
; Kernel info:
; codeLenInByte = 55780
; NumSgprs: 26
; NumVgprs: 244
; ScratchSize: 0
; MemoryBound: 0
; FloatMode: 240
; IeeeMode: 1
; LDSByteSize: 7840 bytes/workgroup (compile time only)
; SGPRBlocks: 3
; VGPRBlocks: 60
; NumSGPRsForWavesPerEU: 26
; NumVGPRsForWavesPerEU: 244
; Occupancy: 1
; WaveLimiterHint : 1
; COMPUTE_PGM_RSRC2:SCRATCH_EN: 0
; COMPUTE_PGM_RSRC2:USER_SGPR: 6
; COMPUTE_PGM_RSRC2:TRAP_HANDLER: 0
; COMPUTE_PGM_RSRC2:TGID_X_EN: 1
; COMPUTE_PGM_RSRC2:TGID_Y_EN: 0
; COMPUTE_PGM_RSRC2:TGID_Z_EN: 0
; COMPUTE_PGM_RSRC2:TIDIG_COMP_CNT: 0
	.type	__hip_cuid_6b1d9828b66eaeca,@object ; @__hip_cuid_6b1d9828b66eaeca
	.section	.bss,"aw",@nobits
	.globl	__hip_cuid_6b1d9828b66eaeca
__hip_cuid_6b1d9828b66eaeca:
	.byte	0                               ; 0x0
	.size	__hip_cuid_6b1d9828b66eaeca, 1

	.ident	"AMD clang version 19.0.0git (https://github.com/RadeonOpenCompute/llvm-project roc-6.4.0 25133 c7fe45cf4b819c5991fe208aaa96edf142730f1d)"
	.section	".note.GNU-stack","",@progbits
	.addrsig
	.addrsig_sym __hip_cuid_6b1d9828b66eaeca
	.amdgpu_metadata
---
amdhsa.kernels:
  - .args:
      - .actual_access:  read_only
        .address_space:  global
        .offset:         0
        .size:           8
        .value_kind:     global_buffer
      - .actual_access:  read_only
        .address_space:  global
        .offset:         8
        .size:           8
        .value_kind:     global_buffer
      - .actual_access:  read_only
        .address_space:  global
        .offset:         16
        .size:           8
        .value_kind:     global_buffer
      - .actual_access:  read_only
        .address_space:  global
        .offset:         24
        .size:           8
        .value_kind:     global_buffer
      - .actual_access:  read_only
        .address_space:  global
        .offset:         32
        .size:           8
        .value_kind:     global_buffer
      - .offset:         40
        .size:           8
        .value_kind:     by_value
      - .address_space:  global
        .offset:         48
        .size:           8
        .value_kind:     global_buffer
      - .address_space:  global
        .offset:         56
        .size:           8
        .value_kind:     global_buffer
      - .address_space:  global
        .offset:         64
        .size:           8
        .value_kind:     global_buffer
      - .address_space:  global
        .offset:         72
        .size:           8
        .value_kind:     global_buffer
      - .offset:         80
        .size:           4
        .value_kind:     by_value
      - .address_space:  global
        .offset:         88
        .size:           8
        .value_kind:     global_buffer
      - .address_space:  global
        .offset:         96
        .size:           8
        .value_kind:     global_buffer
    .group_segment_fixed_size: 7840
    .kernarg_segment_align: 8
    .kernarg_segment_size: 104
    .language:       OpenCL C
    .language_version:
      - 2
      - 0
    .max_flat_workgroup_size: 56
    .name:           bluestein_single_back_len1960_dim1_half_op_CI_CI
    .private_segment_fixed_size: 0
    .sgpr_count:     26
    .sgpr_spill_count: 0
    .symbol:         bluestein_single_back_len1960_dim1_half_op_CI_CI.kd
    .uniform_work_group_size: 1
    .uses_dynamic_stack: false
    .vgpr_count:     244
    .vgpr_spill_count: 0
    .wavefront_size: 64
amdhsa.target:   amdgcn-amd-amdhsa--gfx906
amdhsa.version:
  - 1
  - 2
...

	.end_amdgpu_metadata
